;; amdgpu-corpus repo=ROCm/rocFFT kind=compiled arch=gfx1201 opt=O3
	.text
	.amdgcn_target "amdgcn-amd-amdhsa--gfx1201"
	.amdhsa_code_object_version 6
	.protected	bluestein_single_back_len896_dim1_dp_op_CI_CI ; -- Begin function bluestein_single_back_len896_dim1_dp_op_CI_CI
	.globl	bluestein_single_back_len896_dim1_dp_op_CI_CI
	.p2align	8
	.type	bluestein_single_back_len896_dim1_dp_op_CI_CI,@function
bluestein_single_back_len896_dim1_dp_op_CI_CI: ; @bluestein_single_back_len896_dim1_dp_op_CI_CI
; %bb.0:
	s_load_b128 s[12:15], s[0:1], 0x28
	v_mul_u32_u24_e32 v1, 0x24a, v0
	s_mov_b32 s2, exec_lo
	v_mov_b32_e32 v177, 0
	s_delay_alu instid0(VALU_DEP_2) | instskip(NEXT) | instid1(VALU_DEP_1)
	v_lshrrev_b32_e32 v1, 16, v1
	v_add_nc_u32_e32 v176, ttmp9, v1
	s_wait_kmcnt 0x0
	s_delay_alu instid0(VALU_DEP_1)
	v_cmpx_gt_u64_e64 s[12:13], v[176:177]
	s_cbranch_execz .LBB0_10
; %bb.1:
	s_clause 0x1
	s_load_b128 s[4:7], s[0:1], 0x18
	s_load_b128 s[8:11], s[0:1], 0x0
	v_mul_lo_u16 v1, 0x70, v1
	s_load_b64 s[0:1], s[0:1], 0x38
                                        ; implicit-def: $vgpr152_vgpr153
                                        ; implicit-def: $vgpr160_vgpr161
                                        ; implicit-def: $vgpr156_vgpr157
                                        ; implicit-def: $vgpr164_vgpr165
                                        ; implicit-def: $vgpr168_vgpr169
                                        ; implicit-def: $vgpr172_vgpr173
	s_delay_alu instid0(VALU_DEP_1) | instskip(NEXT) | instid1(VALU_DEP_1)
	v_sub_nc_u16 v32, v0, v1
	v_and_b32_e32 v183, 0xffff, v32
	s_wait_kmcnt 0x0
	s_load_b128 s[16:19], s[4:5], 0x0
	s_movk_i32 s4, 0xeb00
	s_mov_b32 s5, -1
	s_wait_kmcnt 0x0
	v_mad_co_u64_u32 v[8:9], null, s16, v183, 0
	v_mad_co_u64_u32 v[0:1], null, s18, v176, 0
	s_mul_u64 s[2:3], s[16:17], 0x1c00
	s_mul_u64 s[4:5], s[16:17], s[4:5]
	s_delay_alu instid0(VALU_DEP_2) | instskip(SKIP_2) | instid1(VALU_DEP_3)
	v_dual_mov_b32 v2, v9 :: v_dual_lshlrev_b32 v195, 5, v183
	v_and_b32_e32 v124, 63, v183
	v_lshlrev_b32_e32 v184, 4, v183
	v_mad_co_u64_u32 v[3:4], null, s19, v176, v[1:2]
	s_delay_alu instid0(VALU_DEP_3) | instskip(NEXT) | instid1(VALU_DEP_2)
	v_lshlrev_b32_e32 v100, 4, v124
	v_mad_co_u64_u32 v[4:5], null, s17, v183, v[2:3]
	v_mov_b32_e32 v1, v3
	s_delay_alu instid0(VALU_DEP_1) | instskip(NEXT) | instid1(VALU_DEP_3)
	v_lshlrev_b64_e32 v[10:11], 4, v[0:1]
	v_mov_b32_e32 v9, v4
	s_clause 0x1
	global_load_b128 v[0:3], v184, s[8:9]
	global_load_b128 v[4:7], v184, s[8:9] offset:1792
	v_add_co_u32 v18, vcc_lo, s14, v10
	v_lshlrev_b64_e32 v[16:17], 4, v[8:9]
	v_add_co_ci_u32_e32 v19, vcc_lo, s15, v11, vcc_lo
	s_clause 0x2
	global_load_b128 v[8:11], v184, s[8:9] offset:7168
	global_load_b128 v[12:15], v184, s[8:9] offset:8960
	;; [unrolled: 1-line block ×3, first 2 shown]
	v_add_co_u32 v24, vcc_lo, v18, v16
	s_wait_alu 0xfffd
	v_add_co_ci_u32_e32 v25, vcc_lo, v19, v17, vcc_lo
	global_load_b128 v[16:19], v184, s[8:9] offset:3584
	v_add_co_u32 v26, vcc_lo, v24, s2
	s_wait_alu 0xfffd
	v_add_co_ci_u32_e32 v27, vcc_lo, s3, v25, vcc_lo
	s_clause 0x1
	global_load_b128 v[33:36], v[24:25], off
	global_load_b128 v[37:40], v[26:27], off
	v_add_co_u32 v28, vcc_lo, v26, s4
	s_wait_alu 0xfffd
	v_add_co_ci_u32_e32 v29, vcc_lo, s5, v27, vcc_lo
	s_delay_alu instid0(VALU_DEP_2) | instskip(SKIP_1) | instid1(VALU_DEP_2)
	v_add_co_u32 v30, vcc_lo, v28, s2
	s_wait_alu 0xfffd
	v_add_co_ci_u32_e32 v31, vcc_lo, s3, v29, vcc_lo
	s_clause 0x1
	global_load_b128 v[41:44], v[28:29], off
	global_load_b128 v[45:48], v[30:31], off
	v_add_co_u32 v49, vcc_lo, v30, s4
	s_wait_alu 0xfffd
	v_add_co_ci_u32_e32 v50, vcc_lo, s5, v31, vcc_lo
	s_delay_alu instid0(VALU_DEP_2) | instskip(SKIP_1) | instid1(VALU_DEP_2)
	v_add_co_u32 v24, vcc_lo, v49, s2
	s_wait_alu 0xfffd
	v_add_co_ci_u32_e32 v25, vcc_lo, s3, v50, vcc_lo
	global_load_b128 v[49:52], v[49:50], off
	v_add_co_u32 v28, vcc_lo, v24, s4
	s_wait_alu 0xfffd
	v_add_co_ci_u32_e32 v29, vcc_lo, s5, v25, vcc_lo
	s_delay_alu instid0(VALU_DEP_2) | instskip(SKIP_1) | instid1(VALU_DEP_2)
	v_add_co_u32 v61, vcc_lo, v28, s2
	s_wait_alu 0xfffd
	v_add_co_ci_u32_e32 v62, vcc_lo, s3, v29, vcc_lo
	global_load_b128 v[53:56], v[24:25], off
	global_load_b128 v[24:27], v184, s[8:9] offset:5376
	global_load_b128 v[57:60], v[28:29], off
	global_load_b128 v[28:31], v184, s[8:9] offset:12544
	global_load_b128 v[61:64], v[61:62], off
	s_load_b128 s[4:7], s[6:7], 0x0
	v_add_co_u32 v181, s2, s8, v184
	s_wait_alu 0xf1ff
	v_add_co_ci_u32_e64 v182, null, s9, 0, s2
	v_cmp_gt_u16_e32 vcc_lo, 16, v32
	s_wait_loadcnt 0x9
	v_mul_f64_e32 v[65:66], v[35:36], v[2:3]
	v_mul_f64_e32 v[67:68], v[33:34], v[2:3]
	s_wait_loadcnt 0x8
	v_mul_f64_e32 v[69:70], v[39:40], v[10:11]
	v_mul_f64_e32 v[71:72], v[37:38], v[10:11]
	;; [unrolled: 3-line block ×8, first 2 shown]
	v_fma_f64 v[33:34], v[33:34], v[0:1], v[65:66]
	v_fma_f64 v[35:36], v[35:36], v[0:1], -v[67:68]
	v_fma_f64 v[37:38], v[37:38], v[8:9], v[69:70]
	v_fma_f64 v[39:40], v[39:40], v[8:9], -v[71:72]
	;; [unrolled: 2-line block ×4, first 2 shown]
	v_and_b32_e32 v76, 1, v183
	v_and_b32_e32 v80, 3, v183
	v_fma_f64 v[49:50], v[49:50], v[16:17], v[81:82]
	v_fma_f64 v[51:52], v[51:52], v[16:17], -v[83:84]
	s_delay_alu instid0(VALU_DEP_3)
	v_lshlrev_b32_e32 v81, 4, v80
	v_and_b32_e32 v84, 7, v183
	v_fma_f64 v[53:54], v[53:54], v[20:21], v[85:86]
	v_fma_f64 v[55:56], v[55:56], v[20:21], -v[87:88]
	v_fma_f64 v[57:58], v[57:58], v[24:25], v[89:90]
	v_fma_f64 v[59:60], v[59:60], v[24:25], -v[91:92]
	;; [unrolled: 2-line block ×3, first 2 shown]
	v_lshlrev_b32_e32 v85, 4, v84
	v_and_b32_e32 v88, 15, v183
	v_and_b32_e32 v96, 31, v183
	ds_store_b128 v184, v[33:36]
	ds_store_b128 v184, v[41:44] offset:1792
	ds_store_b128 v184, v[37:40] offset:7168
	;; [unrolled: 1-line block ×7, first 2 shown]
	global_wb scope:SCOPE_SE
	s_wait_dscnt 0x0
	s_wait_kmcnt 0x0
	s_barrier_signal -1
	s_barrier_wait -1
	global_inv scope:SCOPE_SE
	ds_load_b128 v[33:36], v184 offset:7168
	ds_load_b128 v[37:40], v184
	ds_load_b128 v[41:44], v184 offset:1792
	ds_load_b128 v[45:48], v184 offset:8960
	;; [unrolled: 1-line block ×6, first 2 shown]
	global_wb scope:SCOPE_SE
	s_wait_dscnt 0x0
	s_barrier_signal -1
	s_barrier_wait -1
	global_inv scope:SCOPE_SE
	v_lshlrev_b32_e32 v89, 4, v88
	v_lshlrev_b32_e32 v90, 4, v96
	v_add_f64_e64 v[65:66], v[37:38], -v[33:34]
	v_add_f64_e64 v[67:68], v[39:40], -v[35:36]
	;; [unrolled: 1-line block ×8, first 2 shown]
	v_add_nc_u32_e32 v35, 0xe0, v183
	v_add_co_u32 v33, null, 0x70, v183
	v_add_nc_u32_e32 v34, 0x150, v183
	s_delay_alu instid0(VALU_DEP_3) | instskip(NEXT) | instid1(VALU_DEP_3)
	v_lshlrev_b32_e32 v69, 5, v35
	v_lshlrev_b32_e32 v190, 5, v33
	v_and_b32_e32 v98, 31, v33
	s_delay_alu instid0(VALU_DEP_4)
	v_lshlrev_b32_e32 v255, 5, v34
	v_and_b32_e32 v97, 31, v34
	v_and_b32_e32 v127, 63, v34
	;; [unrolled: 1-line block ×4, first 2 shown]
	v_fma_f64 v[36:37], v[37:38], 2.0, -v[65:66]
	v_fma_f64 v[38:39], v[39:40], 2.0, -v[67:68]
	;; [unrolled: 1-line block ×8, first 2 shown]
	v_lshlrev_b32_e32 v44, 4, v76
	ds_store_b128 v195, v[36:39]
	ds_store_b128 v195, v[65:68] offset:16
	ds_store_b128 v190, v[40:43]
	ds_store_b128 v190, v[45:48] offset:16
	scratch_store_b32 off, v69, off         ; 4-byte Folded Spill
	ds_store_b128 v69, v[49:52] offset:16
	ds_store_b128 v195, v[53:56] offset:7168
	;; [unrolled: 1-line block ×4, first 2 shown]
	global_wb scope:SCOPE_SE
	s_wait_storecnt_dscnt 0x0
	s_barrier_signal -1
	s_barrier_wait -1
	global_inv scope:SCOPE_SE
	global_load_b128 v[56:59], v44, s[10:11]
	ds_load_b128 v[36:39], v184 offset:7168
	ds_load_b128 v[40:43], v184 offset:8960
	;; [unrolled: 1-line block ×4, first 2 shown]
	s_wait_loadcnt_dscnt 0x3
	v_mul_f64_e32 v[52:53], v[38:39], v[58:59]
	v_mul_f64_e32 v[54:55], v[36:37], v[58:59]
	s_wait_dscnt 0x2
	v_mul_f64_e32 v[60:61], v[42:43], v[58:59]
	v_mul_f64_e32 v[62:63], v[40:41], v[58:59]
	s_wait_dscnt 0x1
	;; [unrolled: 3-line block ×3, first 2 shown]
	v_mul_f64_e32 v[68:69], v[50:51], v[58:59]
	v_mul_f64_e32 v[70:71], v[48:49], v[58:59]
	v_fma_f64 v[52:53], v[36:37], v[56:57], -v[52:53]
	v_fma_f64 v[54:55], v[38:39], v[56:57], v[54:55]
	v_fma_f64 v[60:61], v[40:41], v[56:57], -v[60:61]
	v_fma_f64 v[62:63], v[42:43], v[56:57], v[62:63]
	;; [unrolled: 2-line block ×4, first 2 shown]
	ds_load_b128 v[36:39], v184
	ds_load_b128 v[40:43], v184 offset:1792
	ds_load_b128 v[44:47], v184 offset:3584
	;; [unrolled: 1-line block ×3, first 2 shown]
	global_wb scope:SCOPE_SE
	s_wait_dscnt 0x0
	s_barrier_signal -1
	s_barrier_wait -1
	global_inv scope:SCOPE_SE
	v_add_f64_e64 v[52:53], v[36:37], -v[52:53]
	v_add_f64_e64 v[54:55], v[38:39], -v[54:55]
	v_add_f64_e64 v[60:61], v[40:41], -v[60:61]
	v_add_f64_e64 v[62:63], v[42:43], -v[62:63]
	v_add_f64_e64 v[64:65], v[44:45], -v[64:65]
	v_add_f64_e64 v[66:67], v[46:47], -v[66:67]
	v_add_f64_e64 v[68:69], v[48:49], -v[68:69]
	v_add_f64_e64 v[70:71], v[50:51], -v[70:71]
	v_fma_f64 v[72:73], v[36:37], 2.0, -v[52:53]
	v_fma_f64 v[74:75], v[38:39], 2.0, -v[54:55]
	;; [unrolled: 1-line block ×8, first 2 shown]
	v_lshlrev_b32_e32 v39, 1, v183
	v_lshlrev_b32_e32 v38, 1, v33
	;; [unrolled: 1-line block ×4, first 2 shown]
	s_delay_alu instid0(VALU_DEP_4) | instskip(NEXT) | instid1(VALU_DEP_4)
	v_and_or_b32 v77, 0xfc, v39, v76
	v_and_or_b32 v78, 0x1fc, v38, v76
	s_delay_alu instid0(VALU_DEP_4) | instskip(NEXT) | instid1(VALU_DEP_4)
	v_and_or_b32 v79, 0x3fc, v37, v76
	v_and_or_b32 v76, 0x3fc, v36, v76
	;; [unrolled: 1-line block ×3, first 2 shown]
	v_lshlrev_b32_e32 v201, 4, v77
	v_lshlrev_b32_e32 v196, 4, v78
	;; [unrolled: 1-line block ×4, first 2 shown]
	ds_store_b128 v201, v[72:75]
	ds_store_b128 v201, v[52:55] offset:32
	ds_store_b128 v196, v[40:43]
	ds_store_b128 v196, v[60:63] offset:32
	;; [unrolled: 2-line block ×4, first 2 shown]
	global_wb scope:SCOPE_SE
	s_wait_dscnt 0x0
	s_barrier_signal -1
	s_barrier_wait -1
	global_inv scope:SCOPE_SE
	global_load_b128 v[60:63], v81, s[10:11] offset:32
	ds_load_b128 v[40:43], v184 offset:7168
	ds_load_b128 v[44:47], v184 offset:8960
	;; [unrolled: 1-line block ×4, first 2 shown]
	v_and_or_b32 v81, 0xf8, v39, v80
	v_and_or_b32 v83, 0x3f8, v37, v80
	;; [unrolled: 1-line block ×3, first 2 shown]
	v_lshlrev_b32_e32 v199, 4, v82
	v_and_or_b32 v86, 0x1f0, v38, v84
	v_lshlrev_b32_e32 v204, 4, v81
	v_lshlrev_b32_e32 v194, 4, v83
	;; [unrolled: 1-line block ×3, first 2 shown]
	v_and_or_b32 v87, 0x3f0, v37, v84
	v_lshlrev_b32_e32 v202, 4, v86
	v_and_or_b32 v91, 0x1e0, v38, v88
	v_and_or_b32 v92, 0x3e0, v37, v88
	v_and_or_b32 v99, 0xc0, v39, v96
	v_lshlrev_b32_e32 v198, 4, v87
	v_and_or_b32 v34, 0x1c0, v38, v98
	v_lshlrev_b32_e32 v207, 4, v91
	v_lshlrev_b32_e32 v206, 4, v92
	v_and_or_b32 v35, 0x3c0, v37, v96
	v_lshlrev_b32_e32 v212, 4, v99
	v_and_or_b32 v96, 0x3c0, v36, v97
	v_lshlrev_b32_e32 v211, 4, v34
	v_lshlrev_b32_e32 v34, 4, v127
	;; [unrolled: 1-line block ×3, first 2 shown]
	v_and_or_b32 v37, 0x380, v37, v126
	v_lshlrev_b32_e32 v209, 4, v96
	s_delay_alu instid0(VALU_DEP_2)
	v_lshlrev_b32_e32 v193, 4, v37
	s_wait_loadcnt_dscnt 0x3
	v_mul_f64_e32 v[64:65], v[42:43], v[62:63]
	v_mul_f64_e32 v[66:67], v[40:41], v[62:63]
	s_wait_dscnt 0x2
	v_mul_f64_e32 v[68:69], v[46:47], v[62:63]
	v_mul_f64_e32 v[70:71], v[44:45], v[62:63]
	s_wait_dscnt 0x1
	;; [unrolled: 3-line block ×3, first 2 shown]
	v_mul_f64_e32 v[76:77], v[54:55], v[62:63]
	v_mul_f64_e32 v[78:79], v[52:53], v[62:63]
	v_fma_f64 v[64:65], v[40:41], v[60:61], -v[64:65]
	v_fma_f64 v[66:67], v[42:43], v[60:61], v[66:67]
	v_fma_f64 v[68:69], v[44:45], v[60:61], -v[68:69]
	v_fma_f64 v[70:71], v[46:47], v[60:61], v[70:71]
	;; [unrolled: 2-line block ×4, first 2 shown]
	ds_load_b128 v[40:43], v184
	ds_load_b128 v[44:47], v184 offset:1792
	ds_load_b128 v[48:51], v184 offset:3584
	;; [unrolled: 1-line block ×3, first 2 shown]
	global_wb scope:SCOPE_SE
	s_wait_dscnt 0x0
	s_barrier_signal -1
	s_barrier_wait -1
	global_inv scope:SCOPE_SE
	v_add_f64_e64 v[64:65], v[40:41], -v[64:65]
	v_add_f64_e64 v[66:67], v[42:43], -v[66:67]
	;; [unrolled: 1-line block ×8, first 2 shown]
	v_fma_f64 v[40:41], v[40:41], 2.0, -v[64:65]
	v_fma_f64 v[42:43], v[42:43], 2.0, -v[66:67]
	v_fma_f64 v[44:45], v[44:45], 2.0, -v[68:69]
	v_fma_f64 v[46:47], v[46:47], 2.0, -v[70:71]
	v_fma_f64 v[48:49], v[48:49], 2.0, -v[72:73]
	v_fma_f64 v[50:51], v[50:51], 2.0, -v[74:75]
	v_fma_f64 v[52:53], v[52:53], 2.0, -v[76:77]
	v_fma_f64 v[54:55], v[54:55], 2.0, -v[78:79]
	ds_store_b128 v204, v[40:43]
	ds_store_b128 v204, v[64:67] offset:64
	ds_store_b128 v199, v[44:47]
	ds_store_b128 v199, v[68:71] offset:64
	;; [unrolled: 2-line block ×4, first 2 shown]
	global_wb scope:SCOPE_SE
	s_wait_dscnt 0x0
	s_barrier_signal -1
	s_barrier_wait -1
	global_inv scope:SCOPE_SE
	global_load_b128 v[64:67], v85, s[10:11] offset:96
	ds_load_b128 v[40:43], v184 offset:7168
	ds_load_b128 v[44:47], v184 offset:8960
	;; [unrolled: 1-line block ×4, first 2 shown]
	v_and_or_b32 v85, 0xf0, v39, v84
	v_and_or_b32 v84, 0x3f0, v36, v84
	s_delay_alu instid0(VALU_DEP_2) | instskip(NEXT) | instid1(VALU_DEP_2)
	v_lshlrev_b32_e32 v205, 4, v85
	v_lshlrev_b32_e32 v192, 4, v84
	s_wait_loadcnt_dscnt 0x3
	v_mul_f64_e32 v[68:69], v[42:43], v[66:67]
	v_mul_f64_e32 v[70:71], v[40:41], v[66:67]
	s_wait_dscnt 0x2
	v_mul_f64_e32 v[72:73], v[46:47], v[66:67]
	v_mul_f64_e32 v[74:75], v[44:45], v[66:67]
	s_wait_dscnt 0x1
	;; [unrolled: 3-line block ×3, first 2 shown]
	v_mul_f64_e32 v[80:81], v[54:55], v[66:67]
	v_mul_f64_e32 v[82:83], v[52:53], v[66:67]
	v_fma_f64 v[68:69], v[40:41], v[64:65], -v[68:69]
	v_fma_f64 v[70:71], v[42:43], v[64:65], v[70:71]
	v_fma_f64 v[72:73], v[44:45], v[64:65], -v[72:73]
	v_fma_f64 v[74:75], v[46:47], v[64:65], v[74:75]
	;; [unrolled: 2-line block ×4, first 2 shown]
	ds_load_b128 v[40:43], v184
	ds_load_b128 v[44:47], v184 offset:1792
	ds_load_b128 v[48:51], v184 offset:3584
	;; [unrolled: 1-line block ×3, first 2 shown]
	global_wb scope:SCOPE_SE
	s_wait_dscnt 0x0
	s_barrier_signal -1
	s_barrier_wait -1
	global_inv scope:SCOPE_SE
	v_add_f64_e64 v[68:69], v[40:41], -v[68:69]
	v_add_f64_e64 v[70:71], v[42:43], -v[70:71]
	;; [unrolled: 1-line block ×8, first 2 shown]
	v_fma_f64 v[40:41], v[40:41], 2.0, -v[68:69]
	v_fma_f64 v[42:43], v[42:43], 2.0, -v[70:71]
	;; [unrolled: 1-line block ×8, first 2 shown]
	ds_store_b128 v205, v[40:43]
	ds_store_b128 v205, v[68:71] offset:128
	ds_store_b128 v202, v[44:47]
	ds_store_b128 v202, v[72:75] offset:128
	;; [unrolled: 2-line block ×4, first 2 shown]
	global_wb scope:SCOPE_SE
	s_wait_dscnt 0x0
	s_barrier_signal -1
	s_barrier_wait -1
	global_inv scope:SCOPE_SE
	global_load_b128 v[68:71], v89, s[10:11] offset:224
	ds_load_b128 v[40:43], v184 offset:7168
	ds_load_b128 v[44:47], v184 offset:8960
	;; [unrolled: 1-line block ×4, first 2 shown]
	v_and_or_b32 v89, 0xe0, v39, v88
	v_and_or_b32 v88, 0x3e0, v36, v88
	;; [unrolled: 1-line block ×3, first 2 shown]
	s_delay_alu instid0(VALU_DEP_3) | instskip(SKIP_1) | instid1(VALU_DEP_4)
	v_lshlrev_b32_e32 v208, 4, v89
	v_lshlrev_b32_e32 v89, 4, v97
	;; [unrolled: 1-line block ×5, first 2 shown]
	s_wait_loadcnt_dscnt 0x3
	v_mul_f64_e32 v[72:73], v[42:43], v[70:71]
	v_mul_f64_e32 v[74:75], v[40:41], v[70:71]
	s_wait_dscnt 0x2
	v_mul_f64_e32 v[76:77], v[46:47], v[70:71]
	v_mul_f64_e32 v[78:79], v[44:45], v[70:71]
	s_wait_dscnt 0x1
	;; [unrolled: 3-line block ×3, first 2 shown]
	v_mul_f64_e32 v[84:85], v[54:55], v[70:71]
	v_mul_f64_e32 v[86:87], v[52:53], v[70:71]
	v_fma_f64 v[72:73], v[40:41], v[68:69], -v[72:73]
	v_fma_f64 v[74:75], v[42:43], v[68:69], v[74:75]
	v_fma_f64 v[76:77], v[44:45], v[68:69], -v[76:77]
	v_fma_f64 v[78:79], v[46:47], v[68:69], v[78:79]
	;; [unrolled: 2-line block ×4, first 2 shown]
	ds_load_b128 v[40:43], v184
	ds_load_b128 v[44:47], v184 offset:1792
	ds_load_b128 v[48:51], v184 offset:3584
	;; [unrolled: 1-line block ×3, first 2 shown]
	global_wb scope:SCOPE_SE
	s_wait_dscnt 0x0
	s_barrier_signal -1
	s_barrier_wait -1
	global_inv scope:SCOPE_SE
	v_add_f64_e64 v[72:73], v[40:41], -v[72:73]
	v_add_f64_e64 v[74:75], v[42:43], -v[74:75]
	;; [unrolled: 1-line block ×8, first 2 shown]
	v_fma_f64 v[40:41], v[40:41], 2.0, -v[72:73]
	v_fma_f64 v[42:43], v[42:43], 2.0, -v[74:75]
	;; [unrolled: 1-line block ×8, first 2 shown]
	ds_store_b128 v208, v[40:43]
	ds_store_b128 v208, v[72:75] offset:256
	ds_store_b128 v207, v[44:47]
	ds_store_b128 v207, v[76:79] offset:256
	;; [unrolled: 2-line block ×4, first 2 shown]
	global_wb scope:SCOPE_SE
	s_wait_dscnt 0x0
	s_barrier_signal -1
	s_barrier_wait -1
	global_inv scope:SCOPE_SE
	s_clause 0x2
	global_load_b128 v[76:79], v90, s[10:11] offset:480
	global_load_b128 v[72:75], v89, s[10:11] offset:480
	global_load_b64 v[179:180], v89, s[10:11] offset:488
	v_lshlrev_b32_e32 v40, 4, v98
	v_lshlrev_b32_e32 v98, 4, v126
	global_load_b64 v[177:178], v40, s[10:11] offset:480
	ds_load_b128 v[40:43], v184 offset:7168
	ds_load_b128 v[44:47], v184 offset:8960
	;; [unrolled: 1-line block ×4, first 2 shown]
	s_wait_loadcnt_dscnt 0x303
	v_mul_f64_e32 v[80:81], v[42:43], v[78:79]
	v_mul_f64_e32 v[82:83], v[40:41], v[78:79]
	s_wait_loadcnt_dscnt 0x202
	v_mul_f64_e32 v[84:85], v[46:47], v[74:75]
	v_mul_f64_e32 v[86:87], v[44:45], v[74:75]
	s_wait_dscnt 0x1
	v_mul_f64_e32 v[88:89], v[50:51], v[78:79]
	v_mul_f64_e32 v[90:91], v[48:49], v[78:79]
	s_wait_loadcnt_dscnt 0x100
	v_mul_f64_e32 v[92:93], v[54:55], v[179:180]
	v_mul_f64_e32 v[94:95], v[52:53], v[179:180]
	v_fma_f64 v[80:81], v[40:41], v[76:77], -v[80:81]
	v_fma_f64 v[82:83], v[42:43], v[76:77], v[82:83]
	s_wait_loadcnt 0x0
	v_fma_f64 v[84:85], v[44:45], v[177:178], -v[84:85]
	v_fma_f64 v[86:87], v[46:47], v[177:178], v[86:87]
	v_fma_f64 v[88:89], v[48:49], v[76:77], -v[88:89]
	v_fma_f64 v[90:91], v[50:51], v[76:77], v[90:91]
	;; [unrolled: 2-line block ×3, first 2 shown]
	ds_load_b128 v[40:43], v184
	ds_load_b128 v[44:47], v184 offset:1792
	ds_load_b128 v[48:51], v184 offset:3584
	;; [unrolled: 1-line block ×3, first 2 shown]
	global_wb scope:SCOPE_SE
	s_wait_dscnt 0x0
	s_barrier_signal -1
	s_barrier_wait -1
	global_inv scope:SCOPE_SE
	v_add_f64_e64 v[80:81], v[40:41], -v[80:81]
	v_add_f64_e64 v[82:83], v[42:43], -v[82:83]
	;; [unrolled: 1-line block ×8, first 2 shown]
	v_fma_f64 v[40:41], v[40:41], 2.0, -v[80:81]
	v_fma_f64 v[42:43], v[42:43], 2.0, -v[82:83]
	;; [unrolled: 1-line block ×8, first 2 shown]
	ds_store_b128 v212, v[40:43]
	ds_store_b128 v212, v[80:83] offset:512
	ds_store_b128 v211, v[44:47]
	ds_store_b128 v211, v[84:87] offset:512
	;; [unrolled: 2-line block ×4, first 2 shown]
	global_wb scope:SCOPE_SE
	s_wait_dscnt 0x0
	s_barrier_signal -1
	s_barrier_wait -1
	global_inv scope:SCOPE_SE
	s_clause 0x3
	global_load_b128 v[92:95], v100, s[10:11] offset:992
	global_load_b128 v[88:91], v97, s[10:11] offset:992
	global_load_b128 v[84:87], v98, s[10:11] offset:992
	global_load_b128 v[80:83], v34, s[10:11] offset:992
	ds_load_b128 v[40:43], v184 offset:7168
	ds_load_b128 v[44:47], v184 offset:8960
	;; [unrolled: 1-line block ×4, first 2 shown]
	s_wait_loadcnt_dscnt 0x202
	v_mul_f64_e32 v[98:99], v[46:47], v[90:91]
	v_mul_f64_e32 v[34:35], v[42:43], v[94:95]
	;; [unrolled: 1-line block ×4, first 2 shown]
	s_wait_loadcnt_dscnt 0x101
	v_mul_f64_e32 v[102:103], v[50:51], v[86:87]
	v_mul_f64_e32 v[104:105], v[48:49], v[86:87]
	s_wait_loadcnt_dscnt 0x0
	v_mul_f64_e32 v[106:107], v[54:55], v[82:83]
	v_mul_f64_e32 v[108:109], v[52:53], v[82:83]
	v_fma_f64 v[112:113], v[44:45], v[88:89], -v[98:99]
	v_fma_f64 v[34:35], v[40:41], v[92:93], -v[34:35]
	v_fma_f64 v[110:111], v[42:43], v[92:93], v[96:97]
	v_fma_f64 v[114:115], v[46:47], v[88:89], v[100:101]
	v_fma_f64 v[116:117], v[48:49], v[84:85], -v[102:103]
	v_fma_f64 v[118:119], v[50:51], v[84:85], v[104:105]
	v_fma_f64 v[120:121], v[52:53], v[80:81], -v[106:107]
	v_fma_f64 v[108:109], v[54:55], v[80:81], v[108:109]
	ds_load_b128 v[40:43], v184
	ds_load_b128 v[44:47], v184 offset:1792
	ds_load_b128 v[48:51], v184 offset:3584
	;; [unrolled: 1-line block ×3, first 2 shown]
	global_wb scope:SCOPE_SE
	s_wait_dscnt 0x0
	s_barrier_signal -1
	s_barrier_wait -1
	global_inv scope:SCOPE_SE
	v_add_f64_e64 v[100:101], v[44:45], -v[112:113]
	v_add_f64_e64 v[96:97], v[40:41], -v[34:35]
	;; [unrolled: 1-line block ×8, first 2 shown]
	v_and_or_b32 v34, 0x80, v39, v124
	v_and_or_b32 v35, 0x180, v38, v125
	s_delay_alu instid0(VALU_DEP_2) | instskip(NEXT) | instid1(VALU_DEP_2)
	v_lshlrev_b32_e32 v200, 4, v34
	v_lshlrev_b32_e32 v197, 4, v35
	v_fma_f64 v[44:45], v[44:45], 2.0, -v[100:101]
	v_fma_f64 v[40:41], v[40:41], 2.0, -v[96:97]
	;; [unrolled: 1-line block ×8, first 2 shown]
	ds_store_b128 v200, v[40:43]
	ds_store_b128 v200, v[96:99] offset:1024
	ds_store_b128 v197, v[44:47]
	ds_store_b128 v197, v[100:103] offset:1024
	;; [unrolled: 2-line block ×4, first 2 shown]
	global_wb scope:SCOPE_SE
	s_wait_dscnt 0x0
	s_barrier_signal -1
	s_barrier_wait -1
	global_inv scope:SCOPE_SE
	ds_load_b128 v[124:127], v184
	ds_load_b128 v[144:147], v184 offset:2048
	ds_load_b128 v[140:143], v184 offset:4096
	;; [unrolled: 1-line block ×6, first 2 shown]
	s_and_saveexec_b32 s2, vcc_lo
	s_cbranch_execz .LBB0_3
; %bb.2:
	ds_load_b128 v[120:123], v184 offset:1792
	ds_load_b128 v[152:155], v184 offset:3840
	;; [unrolled: 1-line block ×7, first 2 shown]
.LBB0_3:
	s_wait_alu 0xfffe
	s_or_b32 exec_lo, exec_lo, s2
	v_mad_co_u64_u32 v[44:45], null, 0x60, v183, s[10:11]
	v_and_b32_e32 v32, 0x7f, v33
	s_mov_b32 s2, 0x37e14327
	s_mov_b32 s12, 0xe976ee23
	;; [unrolled: 1-line block ×4, first 2 shown]
	v_mad_co_u64_u32 v[46:47], null, 0x60, v32, s[10:11]
	s_clause 0x1
	global_load_b128 v[108:111], v[44:45], off offset:2016
	global_load_b128 v[100:103], v[44:45], off offset:2032
	s_mov_b32 s10, 0x36b3c0b5
	s_clause 0x9
	global_load_b128 v[104:107], v[44:45], off offset:2096
	global_load_b128 v[96:99], v[44:45], off offset:2080
	;; [unrolled: 1-line block ×10, first 2 shown]
	s_mov_b32 s11, 0x3fac98ee
	s_mov_b32 s13, 0xbfe11646
	;; [unrolled: 1-line block ×8, first 2 shown]
	s_wait_alu 0xfffe
	s_mov_b32 s20, s18
	s_wait_loadcnt_dscnt 0x900
	v_mul_f64_e32 v[221:222], v[150:151], v[106:107]
	v_mul_f64_e32 v[223:224], v[148:149], v[106:107]
	s_wait_loadcnt 0x8
	v_mul_f64_e32 v[225:226], v[138:139], v[98:99]
	v_mul_f64_e32 v[227:228], v[136:137], v[98:99]
	;; [unrolled: 1-line block ×6, first 2 shown]
	s_wait_loadcnt 0x7
	v_mul_f64_e32 v[229:230], v[154:155], v[38:39]
	v_mul_f64_e32 v[231:232], v[152:153], v[38:39]
	s_wait_loadcnt 0x6
	v_mul_f64_e32 v[233:234], v[162:163], v[34:35]
	v_mul_f64_e32 v[235:236], v[160:161], v[34:35]
	s_wait_loadcnt 0x5
	v_mul_f64_e32 v[237:238], v[174:175], v[42:43]
	v_mul_f64_e32 v[239:240], v[172:173], v[42:43]
	s_wait_loadcnt 0x4
	v_mul_f64_e32 v[241:242], v[170:171], v[54:55]
	v_mul_f64_e32 v[243:244], v[168:169], v[54:55]
	s_wait_loadcnt 0x3
	v_mul_f64_e32 v[245:246], v[134:135], v[118:119]
	v_mul_f64_e32 v[247:248], v[132:133], v[118:119]
	s_wait_loadcnt 0x2
	v_mul_f64_e32 v[249:250], v[130:131], v[114:115]
	v_mul_f64_e32 v[251:252], v[128:129], v[114:115]
	v_fma_f64 v[148:149], v[148:149], v[104:105], -v[221:222]
	v_fma_f64 v[150:151], v[150:151], v[104:105], v[223:224]
	v_fma_f64 v[136:137], v[136:137], v[96:97], -v[225:226]
	v_fma_f64 v[138:139], v[138:139], v[96:97], v[227:228]
	;; [unrolled: 2-line block ×4, first 2 shown]
	s_wait_loadcnt 0x1
	v_mul_f64_e32 v[213:214], v[158:159], v[50:51]
	v_mul_f64_e32 v[215:216], v[156:157], v[50:51]
	s_wait_loadcnt 0x0
	v_mul_f64_e32 v[217:218], v[166:167], v[46:47]
	v_mul_f64_e32 v[219:220], v[164:165], v[46:47]
	v_fma_f64 v[152:153], v[152:153], v[36:37], -v[229:230]
	v_fma_f64 v[154:155], v[154:155], v[36:37], v[231:232]
	v_fma_f64 v[160:161], v[160:161], v[32:33], -v[233:234]
	v_fma_f64 v[162:163], v[162:163], v[32:33], v[235:236]
	;; [unrolled: 2-line block ×6, first 2 shown]
	v_add_f64_e32 v[221:222], v[144:145], v[148:149]
	v_add_f64_e32 v[223:224], v[146:147], v[150:151]
	;; [unrolled: 1-line block ×4, first 2 shown]
	v_fma_f64 v[156:157], v[156:157], v[48:49], -v[213:214]
	v_fma_f64 v[158:159], v[158:159], v[48:49], v[215:216]
	v_fma_f64 v[164:165], v[164:165], v[44:45], -v[217:218]
	v_fma_f64 v[166:167], v[166:167], v[44:45], v[219:220]
	v_add_f64_e64 v[136:137], v[140:141], -v[136:137]
	v_add_f64_e64 v[138:139], v[142:143], -v[138:139]
	v_add_f64_e32 v[213:214], v[152:153], v[172:173]
	v_add_f64_e32 v[215:216], v[154:155], v[174:175]
	;; [unrolled: 1-line block ×4, first 2 shown]
	v_add_f64_e64 v[152:153], v[152:153], -v[172:173]
	v_add_f64_e64 v[154:155], v[154:155], -v[174:175]
	v_add_f64_e32 v[229:230], v[132:133], v[128:129]
	v_add_f64_e32 v[231:232], v[134:135], v[130:131]
	v_add_f64_e64 v[128:129], v[128:129], -v[132:133]
	v_add_f64_e64 v[130:131], v[130:131], -v[134:135]
	;; [unrolled: 1-line block ×6, first 2 shown]
	v_add_f64_e32 v[140:141], v[225:226], v[221:222]
	v_add_f64_e32 v[142:143], v[227:228], v[223:224]
	;; [unrolled: 1-line block ×4, first 2 shown]
	v_add_f64_e64 v[156:157], v[164:165], -v[156:157]
	v_add_f64_e64 v[158:159], v[166:167], -v[158:159]
	v_add_f64_e32 v[160:161], v[217:218], v[213:214]
	v_add_f64_e32 v[162:163], v[219:220], v[215:216]
	v_add_f64_e64 v[164:165], v[221:222], -v[229:230]
	v_add_f64_e64 v[166:167], v[223:224], -v[231:232]
	;; [unrolled: 1-line block ×12, first 2 shown]
	v_add_f64_e32 v[136:137], v[128:129], v[136:137]
	v_add_f64_e32 v[138:139], v[130:131], v[138:139]
	v_add_f64_e64 v[128:129], v[132:133], -v[128:129]
	v_add_f64_e64 v[130:131], v[134:135], -v[130:131]
	v_add_f64_e32 v[140:141], v[229:230], v[140:141]
	v_add_f64_e32 v[142:143], v[231:232], v[142:143]
	v_add_f64_e64 v[229:230], v[213:214], -v[148:149]
	v_add_f64_e64 v[231:232], v[215:216], -v[150:151]
	;; [unrolled: 1-line block ×6, first 2 shown]
	v_add_f64_e32 v[225:226], v[156:157], v[144:145]
	v_add_f64_e32 v[227:228], v[158:159], v[146:147]
	v_add_f64_e32 v[160:161], v[148:149], v[160:161]
	v_add_f64_e32 v[162:163], v[150:151], v[162:163]
	v_mul_f64_e32 v[164:165], s[2:3], v[164:165]
	v_mul_f64_e32 v[166:167], s[2:3], v[166:167]
	v_mul_f64_e32 v[249:250], s[10:11], v[168:169]
	v_mul_f64_e32 v[251:252], s[10:11], v[170:171]
	v_mul_f64_e32 v[172:173], s[12:13], v[172:173]
	v_mul_f64_e32 v[174:175], s[12:13], v[174:175]
	v_mul_f64_e32 v[253:254], s[14:15], v[233:234]
	v_mul_f64_e32 v[185:186], s[14:15], v[235:236]
	v_add_f64_e32 v[132:133], v[136:137], v[132:133]
	v_add_f64_e32 v[134:135], v[138:139], v[134:135]
	v_add_f64_e32 v[148:149], v[124:125], v[140:141]
	v_add_f64_e32 v[150:151], v[126:127], v[142:143]
	v_add_f64_e64 v[124:125], v[152:153], -v[156:157]
	v_add_f64_e64 v[126:127], v[154:155], -v[158:159]
	v_mul_f64_e32 v[156:157], s[2:3], v[229:230]
	v_mul_f64_e32 v[158:159], s[2:3], v[231:232]
	;; [unrolled: 1-line block ×6, first 2 shown]
	s_mov_b32 s2, 0x5476071b
	s_mov_b32 s3, 0x3fe77f67
	v_add_f64_e32 v[144:145], v[120:121], v[160:161]
	v_add_f64_e32 v[146:147], v[122:123], v[162:163]
	v_add_f64_e64 v[120:121], v[217:218], -v[213:214]
	v_add_f64_e64 v[122:123], v[219:220], -v[215:216]
	v_mul_f64_e32 v[213:214], s[10:11], v[245:246]
	v_mul_f64_e32 v[215:216], s[10:11], v[247:248]
	s_mov_b32 s13, 0xbfe77f67
	s_wait_alu 0xfffe
	s_mov_b32 s12, s2
	v_add_f64_e32 v[136:137], v[225:226], v[152:153]
	v_add_f64_e32 v[138:139], v[227:228], v[154:155]
	v_fma_f64 v[152:153], v[168:169], s[10:11], v[164:165]
	v_fma_f64 v[154:155], v[170:171], s[10:11], v[166:167]
	v_fma_f64 v[168:169], v[221:222], s[2:3], -v[249:250]
	v_fma_f64 v[170:171], v[223:224], s[2:3], -v[251:252]
	v_fma_f64 v[217:218], v[128:129], s[18:19], v[172:173]
	v_fma_f64 v[219:220], v[130:131], s[18:19], v[174:175]
	v_fma_f64 v[172:173], v[233:234], s[14:15], -v[172:173]
	v_fma_f64 v[174:175], v[235:236], s[14:15], -v[174:175]
	;; [unrolled: 1-line block ×4, first 2 shown]
	s_wait_alu 0xfffe
	v_fma_f64 v[164:165], v[221:222], s[12:13], -v[164:165]
	v_fma_f64 v[166:167], v[223:224], s[12:13], -v[166:167]
	v_fma_f64 v[140:141], v[140:141], s[16:17], v[148:149]
	v_fma_f64 v[142:143], v[142:143], s[16:17], v[150:151]
	;; [unrolled: 1-line block ×6, first 2 shown]
	v_fma_f64 v[227:228], v[241:242], s[14:15], -v[229:230]
	v_fma_f64 v[229:230], v[243:244], s[14:15], -v[231:232]
	;; [unrolled: 1-line block ×4, first 2 shown]
	v_fma_f64 v[160:161], v[160:161], s[16:17], v[144:145]
	v_fma_f64 v[162:163], v[162:163], s[16:17], v[146:147]
	v_fma_f64 v[156:157], v[120:121], s[12:13], -v[156:157]
	v_fma_f64 v[158:159], v[122:123], s[12:13], -v[158:159]
	v_fma_f64 v[120:121], v[120:121], s[2:3], -v[213:214]
	v_fma_f64 v[122:123], v[122:123], s[2:3], -v[215:216]
	s_mov_b32 s2, 0x37c3f68c
	s_mov_b32 s3, 0x3fdc38aa
	s_wait_alu 0xfffe
	v_fma_f64 v[213:214], v[132:133], s[2:3], v[217:218]
	v_fma_f64 v[215:216], v[134:135], s[2:3], v[219:220]
	;; [unrolled: 1-line block ×6, first 2 shown]
	v_add_f64_e32 v[132:133], v[152:153], v[140:141]
	v_add_f64_e32 v[134:135], v[154:155], v[142:143]
	;; [unrolled: 1-line block ×6, first 2 shown]
	v_fma_f64 v[223:224], v[136:137], s[2:3], v[223:224]
	v_fma_f64 v[225:226], v[138:139], s[2:3], v[225:226]
	;; [unrolled: 1-line block ×6, first 2 shown]
	v_add_f64_e32 v[185:186], v[185:186], v[160:161]
	v_add_f64_e32 v[221:222], v[221:222], v[162:163]
	;; [unrolled: 1-line block ×7, first 2 shown]
	v_add_f64_e64 v[154:155], v[134:135], -v[213:214]
	v_add_f64_e32 v[156:157], v[130:131], v[217:218]
	v_add_f64_e64 v[158:159], v[219:220], -v[128:129]
	v_add_f64_e64 v[160:161], v[140:141], -v[174:175]
	v_add_f64_e32 v[162:163], v[172:173], v[142:143]
	v_add_f64_e32 v[164:165], v[174:175], v[140:141]
	v_add_f64_e64 v[166:167], v[142:143], -v[172:173]
	v_add_f64_e64 v[168:169], v[217:218], -v[130:131]
	v_add_f64_e32 v[170:171], v[128:129], v[219:220]
	v_add_f64_e64 v[172:173], v[132:133], -v[215:216]
	v_add_f64_e32 v[174:175], v[213:214], v[134:135]
	v_add_f64_e32 v[120:121], v[225:226], v[185:186]
	v_add_f64_e64 v[122:123], v[221:222], -v[223:224]
	v_add_f64_e32 v[124:125], v[136:137], v[138:139]
	v_add_f64_e64 v[126:127], v[233:234], -v[231:232]
	v_add_f64_e64 v[128:129], v[235:236], -v[229:230]
	v_add_f64_e32 v[130:131], v[227:228], v[237:238]
	v_add_f64_e32 v[132:133], v[229:230], v[235:236]
	v_add_f64_e64 v[134:135], v[237:238], -v[227:228]
	v_add_f64_e64 v[136:137], v[138:139], -v[136:137]
	v_add_f64_e32 v[138:139], v[231:232], v[233:234]
	v_add_f64_e64 v[140:141], v[185:186], -v[225:226]
	v_add_f64_e32 v[142:143], v[223:224], v[221:222]
	ds_store_b128 v184, v[148:151]
	ds_store_b128 v184, v[152:155] offset:2048
	ds_store_b128 v184, v[156:159] offset:4096
	;; [unrolled: 1-line block ×6, first 2 shown]
	s_and_saveexec_b32 s2, vcc_lo
	s_cbranch_execz .LBB0_5
; %bb.4:
	ds_store_b128 v184, v[144:147] offset:1792
	ds_store_b128 v184, v[120:123] offset:3840
	ds_store_b128 v184, v[124:127] offset:5888
	ds_store_b128 v184, v[128:131] offset:7936
	ds_store_b128 v184, v[132:135] offset:9984
	ds_store_b128 v184, v[136:139] offset:12032
	ds_store_b128 v184, v[140:143] offset:14080
.LBB0_5:
	s_wait_alu 0xfffe
	s_or_b32 exec_lo, exec_lo, s2
	global_wb scope:SCOPE_SE
	s_wait_dscnt 0x0
	s_barrier_signal -1
	s_barrier_wait -1
	global_inv scope:SCOPE_SE
	global_load_b128 v[144:147], v[181:182], off offset:14336
	ds_load_b128 v[148:151], v184
	ds_load_b128 v[152:155], v184 offset:1792
	v_lshlrev_b32_e32 v181, 4, v183
	s_add_nc_u64 s[2:3], s[8:9], 0x3800
	s_wait_loadcnt_dscnt 0x1
	v_mul_f64_e32 v[156:157], v[150:151], v[146:147]
	v_mul_f64_e32 v[158:159], v[148:149], v[146:147]
	s_delay_alu instid0(VALU_DEP_2) | instskip(NEXT) | instid1(VALU_DEP_2)
	v_fma_f64 v[146:147], v[148:149], v[144:145], -v[156:157]
	v_fma_f64 v[148:149], v[150:151], v[144:145], v[158:159]
	global_load_b128 v[156:159], v181, s[2:3] offset:7168
	ds_load_b128 v[160:163], v184 offset:7168
	ds_load_b128 v[164:167], v184 offset:8960
	s_clause 0x2
	global_load_b128 v[168:171], v181, s[2:3] offset:5376
	global_load_b128 v[172:175], v181, s[2:3] offset:1792
	global_load_b128 v[213:216], v181, s[2:3] offset:3584
	s_wait_loadcnt_dscnt 0x301
	v_mul_f64_e32 v[144:145], v[162:163], v[158:159]
	v_mul_f64_e32 v[150:151], v[160:161], v[158:159]
	s_delay_alu instid0(VALU_DEP_2) | instskip(NEXT) | instid1(VALU_DEP_2)
	v_fma_f64 v[158:159], v[160:161], v[156:157], -v[144:145]
	v_fma_f64 v[160:161], v[162:163], v[156:157], v[150:151]
	s_wait_loadcnt 0x1
	v_mul_f64_e32 v[144:145], v[154:155], v[174:175]
	v_mul_f64_e32 v[156:157], v[152:153], v[174:175]
	s_delay_alu instid0(VALU_DEP_2) | instskip(NEXT) | instid1(VALU_DEP_2)
	v_fma_f64 v[150:151], v[152:153], v[172:173], -v[144:145]
	v_fma_f64 v[152:153], v[154:155], v[172:173], v[156:157]
	s_clause 0x1
	global_load_b128 v[154:157], v181, s[2:3] offset:8960
	global_load_b128 v[172:175], v181, s[2:3] offset:10752
	s_wait_loadcnt_dscnt 0x100
	v_mul_f64_e32 v[144:145], v[166:167], v[156:157]
	v_mul_f64_e32 v[156:157], v[164:165], v[156:157]
	s_delay_alu instid0(VALU_DEP_2) | instskip(NEXT) | instid1(VALU_DEP_2)
	v_fma_f64 v[162:163], v[164:165], v[154:155], -v[144:145]
	v_fma_f64 v[164:165], v[166:167], v[154:155], v[156:157]
	ds_load_b128 v[154:157], v184 offset:3584
	ds_load_b128 v[217:220], v184 offset:5376
	s_wait_dscnt 0x1
	v_mul_f64_e32 v[144:145], v[156:157], v[215:216]
	v_mul_f64_e32 v[166:167], v[154:155], v[215:216]
	s_delay_alu instid0(VALU_DEP_2) | instskip(NEXT) | instid1(VALU_DEP_2)
	v_fma_f64 v[154:155], v[154:155], v[213:214], -v[144:145]
	v_fma_f64 v[156:157], v[156:157], v[213:214], v[166:167]
	ds_load_b128 v[213:216], v184 offset:10752
	ds_load_b128 v[221:224], v184 offset:12544
	s_wait_loadcnt_dscnt 0x1
	v_mul_f64_e32 v[144:145], v[215:216], v[174:175]
	v_mul_f64_e32 v[166:167], v[213:214], v[174:175]
	s_delay_alu instid0(VALU_DEP_2) | instskip(SKIP_2) | instid1(VALU_DEP_4)
	v_fma_f64 v[213:214], v[213:214], v[172:173], -v[144:145]
	v_mul_f64_e32 v[144:145], v[219:220], v[170:171]
	v_mul_f64_e32 v[170:171], v[217:218], v[170:171]
	v_fma_f64 v[215:216], v[215:216], v[172:173], v[166:167]
	s_delay_alu instid0(VALU_DEP_3) | instskip(NEXT) | instid1(VALU_DEP_3)
	v_fma_f64 v[166:167], v[217:218], v[168:169], -v[144:145]
	v_fma_f64 v[168:169], v[219:220], v[168:169], v[170:171]
	global_load_b128 v[170:173], v181, s[2:3] offset:12544
	s_wait_loadcnt_dscnt 0x0
	v_mul_f64_e32 v[144:145], v[223:224], v[172:173]
	v_mul_f64_e32 v[174:175], v[221:222], v[172:173]
	s_delay_alu instid0(VALU_DEP_2) | instskip(NEXT) | instid1(VALU_DEP_2)
	v_fma_f64 v[172:173], v[221:222], v[170:171], -v[144:145]
	v_fma_f64 v[174:175], v[223:224], v[170:171], v[174:175]
	ds_store_b128 v184, v[146:149]
	ds_store_b128 v184, v[150:153] offset:1792
	ds_store_b128 v184, v[158:161] offset:7168
	;; [unrolled: 1-line block ×7, first 2 shown]
	global_wb scope:SCOPE_SE
	s_wait_dscnt 0x0
	s_barrier_signal -1
	s_barrier_wait -1
	global_inv scope:SCOPE_SE
	ds_load_b128 v[144:147], v184 offset:7168
	ds_load_b128 v[148:151], v184
	ds_load_b128 v[152:155], v184 offset:1792
	ds_load_b128 v[156:159], v184 offset:8960
	;; [unrolled: 1-line block ×6, first 2 shown]
	global_wb scope:SCOPE_SE
	s_wait_dscnt 0x0
	s_barrier_signal -1
	s_barrier_wait -1
	global_inv scope:SCOPE_SE
	v_add_f64_e64 v[144:145], v[148:149], -v[144:145]
	v_add_f64_e64 v[146:147], v[150:151], -v[146:147]
	s_delay_alu instid0(VALU_DEP_2) | instskip(NEXT) | instid1(VALU_DEP_2)
	v_fma_f64 v[148:149], v[148:149], 2.0, -v[144:145]
	v_fma_f64 v[150:151], v[150:151], 2.0, -v[146:147]
	ds_store_b128 v195, v[144:147] offset:16
	ds_store_b128 v195, v[148:151]
	v_add_f64_e64 v[144:145], v[152:153], -v[156:157]
	v_add_f64_e64 v[146:147], v[154:155], -v[158:159]
	s_delay_alu instid0(VALU_DEP_2) | instskip(NEXT) | instid1(VALU_DEP_2)
	v_fma_f64 v[148:149], v[152:153], 2.0, -v[144:145]
	v_fma_f64 v[150:151], v[154:155], 2.0, -v[146:147]
	ds_store_b128 v190, v[148:151]
	ds_store_b128 v190, v[144:147] offset:16
	scratch_load_b32 v152, off, off th:TH_LOAD_LU ; 4-byte Folded Reload
	v_add_f64_e64 v[144:145], v[160:161], -v[168:169]
	v_add_f64_e64 v[146:147], v[162:163], -v[170:171]
	s_delay_alu instid0(VALU_DEP_2) | instskip(NEXT) | instid1(VALU_DEP_2)
	v_fma_f64 v[148:149], v[160:161], 2.0, -v[144:145]
	v_fma_f64 v[150:151], v[162:163], 2.0, -v[146:147]
	s_wait_loadcnt 0x0
	ds_store_b128 v152, v[148:151]
	ds_store_b128 v152, v[144:147] offset:16
	v_add_f64_e64 v[144:145], v[164:165], -v[172:173]
	v_add_f64_e64 v[146:147], v[166:167], -v[174:175]
	s_delay_alu instid0(VALU_DEP_2) | instskip(NEXT) | instid1(VALU_DEP_2)
	v_fma_f64 v[148:149], v[164:165], 2.0, -v[144:145]
	v_fma_f64 v[150:151], v[166:167], 2.0, -v[146:147]
	ds_store_b128 v255, v[148:151]
	ds_store_b128 v255, v[144:147] offset:16
	global_wb scope:SCOPE_SE
	s_wait_dscnt 0x0
	s_barrier_signal -1
	s_barrier_wait -1
	global_inv scope:SCOPE_SE
	ds_load_b128 v[144:147], v184 offset:7168
	ds_load_b128 v[148:151], v184 offset:8960
	s_wait_dscnt 0x1
	v_mul_f64_e32 v[152:153], v[58:59], v[146:147]
	s_delay_alu instid0(VALU_DEP_1) | instskip(SKIP_1) | instid1(VALU_DEP_1)
	v_fma_f64 v[152:153], v[56:57], v[144:145], v[152:153]
	v_mul_f64_e32 v[144:145], v[58:59], v[144:145]
	v_fma_f64 v[154:155], v[56:57], v[146:147], -v[144:145]
	s_wait_dscnt 0x0
	v_mul_f64_e32 v[144:145], v[58:59], v[150:151]
	s_delay_alu instid0(VALU_DEP_1) | instskip(SKIP_1) | instid1(VALU_DEP_1)
	v_fma_f64 v[160:161], v[56:57], v[148:149], v[144:145]
	v_mul_f64_e32 v[144:145], v[58:59], v[148:149]
	v_fma_f64 v[162:163], v[56:57], v[150:151], -v[144:145]
	ds_load_b128 v[144:147], v184 offset:10752
	ds_load_b128 v[148:151], v184 offset:12544
	s_wait_dscnt 0x1
	v_mul_f64_e32 v[156:157], v[58:59], v[146:147]
	s_delay_alu instid0(VALU_DEP_1) | instskip(SKIP_1) | instid1(VALU_DEP_1)
	v_fma_f64 v[164:165], v[56:57], v[144:145], v[156:157]
	v_mul_f64_e32 v[144:145], v[58:59], v[144:145]
	v_fma_f64 v[166:167], v[56:57], v[146:147], -v[144:145]
	s_wait_dscnt 0x0
	v_mul_f64_e32 v[144:145], v[58:59], v[150:151]
	v_mul_f64_e32 v[58:59], v[58:59], v[148:149]
	s_delay_alu instid0(VALU_DEP_2) | instskip(NEXT) | instid1(VALU_DEP_2)
	v_fma_f64 v[168:169], v[56:57], v[148:149], v[144:145]
	v_fma_f64 v[170:171], v[56:57], v[150:151], -v[58:59]
	ds_load_b128 v[56:59], v184
	ds_load_b128 v[144:147], v184 offset:1792
	s_wait_dscnt 0x1
	v_add_f64_e64 v[148:149], v[56:57], -v[152:153]
	v_add_f64_e64 v[150:151], v[58:59], -v[154:155]
	ds_load_b128 v[152:155], v184 offset:3584
	ds_load_b128 v[156:159], v184 offset:5376
	global_wb scope:SCOPE_SE
	s_wait_dscnt 0x0
	s_barrier_signal -1
	s_barrier_wait -1
	global_inv scope:SCOPE_SE
	v_fma_f64 v[56:57], v[56:57], 2.0, -v[148:149]
	v_fma_f64 v[58:59], v[58:59], 2.0, -v[150:151]
	ds_store_b128 v201, v[148:151] offset:32
	ds_store_b128 v201, v[56:59]
	v_add_f64_e64 v[56:57], v[144:145], -v[160:161]
	v_add_f64_e64 v[58:59], v[146:147], -v[162:163]
	s_delay_alu instid0(VALU_DEP_2) | instskip(NEXT) | instid1(VALU_DEP_2)
	v_fma_f64 v[144:145], v[144:145], 2.0, -v[56:57]
	v_fma_f64 v[146:147], v[146:147], 2.0, -v[58:59]
	ds_store_b128 v196, v[144:147]
	ds_store_b128 v196, v[56:59] offset:32
	v_add_f64_e64 v[56:57], v[152:153], -v[164:165]
	v_add_f64_e64 v[58:59], v[154:155], -v[166:167]
	s_delay_alu instid0(VALU_DEP_2) | instskip(NEXT) | instid1(VALU_DEP_2)
	v_fma_f64 v[144:145], v[152:153], 2.0, -v[56:57]
	v_fma_f64 v[146:147], v[154:155], 2.0, -v[58:59]
	ds_store_b128 v191, v[144:147]
	ds_store_b128 v191, v[56:59] offset:32
	;; [unrolled: 7-line block ×3, first 2 shown]
	global_wb scope:SCOPE_SE
	s_wait_dscnt 0x0
	s_barrier_signal -1
	s_barrier_wait -1
	global_inv scope:SCOPE_SE
	ds_load_b128 v[56:59], v184 offset:7168
	ds_load_b128 v[144:147], v184 offset:8960
	s_wait_dscnt 0x1
	v_mul_f64_e32 v[148:149], v[62:63], v[58:59]
	s_delay_alu instid0(VALU_DEP_1) | instskip(SKIP_1) | instid1(VALU_DEP_1)
	v_fma_f64 v[148:149], v[60:61], v[56:57], v[148:149]
	v_mul_f64_e32 v[56:57], v[62:63], v[56:57]
	v_fma_f64 v[150:151], v[60:61], v[58:59], -v[56:57]
	s_wait_dscnt 0x0
	v_mul_f64_e32 v[56:57], v[62:63], v[146:147]
	s_delay_alu instid0(VALU_DEP_1) | instskip(SKIP_1) | instid1(VALU_DEP_1)
	v_fma_f64 v[156:157], v[60:61], v[144:145], v[56:57]
	v_mul_f64_e32 v[56:57], v[62:63], v[144:145]
	v_fma_f64 v[158:159], v[60:61], v[146:147], -v[56:57]
	ds_load_b128 v[56:59], v184 offset:10752
	ds_load_b128 v[144:147], v184 offset:12544
	s_wait_dscnt 0x1
	v_mul_f64_e32 v[152:153], v[62:63], v[58:59]
	s_delay_alu instid0(VALU_DEP_1) | instskip(SKIP_1) | instid1(VALU_DEP_1)
	v_fma_f64 v[160:161], v[60:61], v[56:57], v[152:153]
	v_mul_f64_e32 v[56:57], v[62:63], v[56:57]
	v_fma_f64 v[162:163], v[60:61], v[58:59], -v[56:57]
	s_wait_dscnt 0x0
	v_mul_f64_e32 v[56:57], v[62:63], v[146:147]
	s_delay_alu instid0(VALU_DEP_1) | instskip(SKIP_1) | instid1(VALU_DEP_1)
	v_fma_f64 v[164:165], v[60:61], v[144:145], v[56:57]
	v_mul_f64_e32 v[56:57], v[62:63], v[144:145]
	v_fma_f64 v[166:167], v[60:61], v[146:147], -v[56:57]
	ds_load_b128 v[56:59], v184
	ds_load_b128 v[60:63], v184 offset:1792
	s_wait_dscnt 0x1
	v_add_f64_e64 v[144:145], v[56:57], -v[148:149]
	v_add_f64_e64 v[146:147], v[58:59], -v[150:151]
	ds_load_b128 v[148:151], v184 offset:3584
	ds_load_b128 v[152:155], v184 offset:5376
	global_wb scope:SCOPE_SE
	s_wait_dscnt 0x0
	s_barrier_signal -1
	s_barrier_wait -1
	global_inv scope:SCOPE_SE
	v_fma_f64 v[56:57], v[56:57], 2.0, -v[144:145]
	v_fma_f64 v[58:59], v[58:59], 2.0, -v[146:147]
	ds_store_b128 v204, v[144:147] offset:64
	ds_store_b128 v204, v[56:59]
	v_add_f64_e64 v[56:57], v[60:61], -v[156:157]
	v_add_f64_e64 v[58:59], v[62:63], -v[158:159]
	s_delay_alu instid0(VALU_DEP_2) | instskip(NEXT) | instid1(VALU_DEP_2)
	v_fma_f64 v[60:61], v[60:61], 2.0, -v[56:57]
	v_fma_f64 v[62:63], v[62:63], 2.0, -v[58:59]
	ds_store_b128 v199, v[60:63]
	ds_store_b128 v199, v[56:59] offset:64
	v_add_f64_e64 v[56:57], v[148:149], -v[160:161]
	v_add_f64_e64 v[58:59], v[150:151], -v[162:163]
	s_delay_alu instid0(VALU_DEP_2) | instskip(NEXT) | instid1(VALU_DEP_2)
	v_fma_f64 v[60:61], v[148:149], 2.0, -v[56:57]
	v_fma_f64 v[62:63], v[150:151], 2.0, -v[58:59]
	ds_store_b128 v194, v[60:63]
	ds_store_b128 v194, v[56:59] offset:64
	;; [unrolled: 7-line block ×3, first 2 shown]
	global_wb scope:SCOPE_SE
	s_wait_dscnt 0x0
	s_barrier_signal -1
	s_barrier_wait -1
	global_inv scope:SCOPE_SE
	ds_load_b128 v[56:59], v184 offset:7168
	ds_load_b128 v[60:63], v184 offset:8960
	s_wait_dscnt 0x1
	v_mul_f64_e32 v[144:145], v[66:67], v[58:59]
	s_delay_alu instid0(VALU_DEP_1) | instskip(SKIP_1) | instid1(VALU_DEP_1)
	v_fma_f64 v[144:145], v[64:65], v[56:57], v[144:145]
	v_mul_f64_e32 v[56:57], v[66:67], v[56:57]
	v_fma_f64 v[146:147], v[64:65], v[58:59], -v[56:57]
	s_wait_dscnt 0x0
	v_mul_f64_e32 v[56:57], v[66:67], v[62:63]
	s_delay_alu instid0(VALU_DEP_1) | instskip(SKIP_1) | instid1(VALU_DEP_1)
	v_fma_f64 v[152:153], v[64:65], v[60:61], v[56:57]
	v_mul_f64_e32 v[56:57], v[66:67], v[60:61]
	v_fma_f64 v[154:155], v[64:65], v[62:63], -v[56:57]
	ds_load_b128 v[56:59], v184 offset:10752
	ds_load_b128 v[60:63], v184 offset:12544
	s_wait_dscnt 0x1
	v_mul_f64_e32 v[148:149], v[66:67], v[58:59]
	s_delay_alu instid0(VALU_DEP_1) | instskip(SKIP_1) | instid1(VALU_DEP_1)
	v_fma_f64 v[156:157], v[64:65], v[56:57], v[148:149]
	v_mul_f64_e32 v[56:57], v[66:67], v[56:57]
	v_fma_f64 v[158:159], v[64:65], v[58:59], -v[56:57]
	s_wait_dscnt 0x0
	v_mul_f64_e32 v[56:57], v[66:67], v[62:63]
	s_delay_alu instid0(VALU_DEP_1) | instskip(SKIP_1) | instid1(VALU_DEP_1)
	v_fma_f64 v[160:161], v[64:65], v[60:61], v[56:57]
	v_mul_f64_e32 v[56:57], v[66:67], v[60:61]
	v_fma_f64 v[162:163], v[64:65], v[62:63], -v[56:57]
	ds_load_b128 v[56:59], v184
	ds_load_b128 v[60:63], v184 offset:1792
	s_wait_dscnt 0x1
	v_add_f64_e64 v[64:65], v[56:57], -v[144:145]
	v_add_f64_e64 v[66:67], v[58:59], -v[146:147]
	ds_load_b128 v[144:147], v184 offset:3584
	ds_load_b128 v[148:151], v184 offset:5376
	global_wb scope:SCOPE_SE
	s_wait_dscnt 0x0
	s_barrier_signal -1
	s_barrier_wait -1
	global_inv scope:SCOPE_SE
	v_fma_f64 v[56:57], v[56:57], 2.0, -v[64:65]
	v_fma_f64 v[58:59], v[58:59], 2.0, -v[66:67]
	ds_store_b128 v205, v[64:67] offset:128
	ds_store_b128 v205, v[56:59]
	v_add_f64_e64 v[56:57], v[60:61], -v[152:153]
	v_add_f64_e64 v[58:59], v[62:63], -v[154:155]
	s_delay_alu instid0(VALU_DEP_2) | instskip(NEXT) | instid1(VALU_DEP_2)
	v_fma_f64 v[60:61], v[60:61], 2.0, -v[56:57]
	v_fma_f64 v[62:63], v[62:63], 2.0, -v[58:59]
	ds_store_b128 v202, v[60:63]
	ds_store_b128 v202, v[56:59] offset:128
	v_add_f64_e64 v[56:57], v[144:145], -v[156:157]
	v_add_f64_e64 v[58:59], v[146:147], -v[158:159]
	s_delay_alu instid0(VALU_DEP_2) | instskip(NEXT) | instid1(VALU_DEP_2)
	v_fma_f64 v[60:61], v[144:145], 2.0, -v[56:57]
	v_fma_f64 v[62:63], v[146:147], 2.0, -v[58:59]
	ds_store_b128 v198, v[60:63]
	ds_store_b128 v198, v[56:59] offset:128
	;; [unrolled: 7-line block ×3, first 2 shown]
	global_wb scope:SCOPE_SE
	s_wait_dscnt 0x0
	s_barrier_signal -1
	s_barrier_wait -1
	global_inv scope:SCOPE_SE
	ds_load_b128 v[56:59], v184 offset:7168
	ds_load_b128 v[60:63], v184 offset:8960
	s_wait_dscnt 0x1
	v_mul_f64_e32 v[64:65], v[70:71], v[58:59]
	s_delay_alu instid0(VALU_DEP_1) | instskip(SKIP_1) | instid1(VALU_DEP_1)
	v_fma_f64 v[64:65], v[68:69], v[56:57], v[64:65]
	v_mul_f64_e32 v[56:57], v[70:71], v[56:57]
	v_fma_f64 v[66:67], v[68:69], v[58:59], -v[56:57]
	s_wait_dscnt 0x0
	v_mul_f64_e32 v[56:57], v[70:71], v[62:63]
	s_delay_alu instid0(VALU_DEP_1) | instskip(SKIP_1) | instid1(VALU_DEP_1)
	v_fma_f64 v[148:149], v[68:69], v[60:61], v[56:57]
	v_mul_f64_e32 v[56:57], v[70:71], v[60:61]
	v_fma_f64 v[150:151], v[68:69], v[62:63], -v[56:57]
	ds_load_b128 v[56:59], v184 offset:10752
	ds_load_b128 v[60:63], v184 offset:12544
	s_wait_dscnt 0x1
	v_mul_f64_e32 v[144:145], v[70:71], v[58:59]
	s_delay_alu instid0(VALU_DEP_1) | instskip(SKIP_1) | instid1(VALU_DEP_1)
	v_fma_f64 v[152:153], v[68:69], v[56:57], v[144:145]
	v_mul_f64_e32 v[56:57], v[70:71], v[56:57]
	v_fma_f64 v[154:155], v[68:69], v[58:59], -v[56:57]
	s_wait_dscnt 0x0
	v_mul_f64_e32 v[56:57], v[70:71], v[62:63]
	s_delay_alu instid0(VALU_DEP_1) | instskip(SKIP_1) | instid1(VALU_DEP_1)
	v_fma_f64 v[156:157], v[68:69], v[60:61], v[56:57]
	v_mul_f64_e32 v[56:57], v[70:71], v[60:61]
	v_fma_f64 v[158:159], v[68:69], v[62:63], -v[56:57]
	ds_load_b128 v[56:59], v184
	ds_load_b128 v[60:63], v184 offset:1792
	ds_load_b128 v[68:71], v184 offset:3584
	;; [unrolled: 1-line block ×3, first 2 shown]
	global_wb scope:SCOPE_SE
	s_wait_dscnt 0x0
	s_barrier_signal -1
	s_barrier_wait -1
	global_inv scope:SCOPE_SE
	v_add_f64_e64 v[64:65], v[56:57], -v[64:65]
	v_add_f64_e64 v[66:67], v[58:59], -v[66:67]
	s_delay_alu instid0(VALU_DEP_2) | instskip(NEXT) | instid1(VALU_DEP_2)
	v_fma_f64 v[56:57], v[56:57], 2.0, -v[64:65]
	v_fma_f64 v[58:59], v[58:59], 2.0, -v[66:67]
	ds_store_b128 v208, v[64:67] offset:256
	ds_store_b128 v208, v[56:59]
	v_add_f64_e64 v[56:57], v[60:61], -v[148:149]
	v_add_f64_e64 v[58:59], v[62:63], -v[150:151]
	s_delay_alu instid0(VALU_DEP_2) | instskip(NEXT) | instid1(VALU_DEP_2)
	v_fma_f64 v[60:61], v[60:61], 2.0, -v[56:57]
	v_fma_f64 v[62:63], v[62:63], 2.0, -v[58:59]
	ds_store_b128 v207, v[60:63]
	ds_store_b128 v207, v[56:59] offset:256
	v_add_f64_e64 v[56:57], v[68:69], -v[152:153]
	v_add_f64_e64 v[58:59], v[70:71], -v[154:155]
	s_delay_alu instid0(VALU_DEP_2) | instskip(NEXT) | instid1(VALU_DEP_2)
	v_fma_f64 v[60:61], v[68:69], 2.0, -v[56:57]
	v_fma_f64 v[62:63], v[70:71], 2.0, -v[58:59]
	ds_store_b128 v206, v[60:63]
	ds_store_b128 v206, v[56:59] offset:256
	;; [unrolled: 7-line block ×3, first 2 shown]
	global_wb scope:SCOPE_SE
	s_wait_dscnt 0x0
	s_barrier_signal -1
	s_barrier_wait -1
	global_inv scope:SCOPE_SE
	ds_load_b128 v[56:59], v184 offset:7168
	ds_load_b128 v[60:63], v184 offset:8960
	s_wait_dscnt 0x1
	v_mul_f64_e32 v[64:65], v[78:79], v[58:59]
	s_delay_alu instid0(VALU_DEP_1) | instskip(SKIP_1) | instid1(VALU_DEP_1)
	v_fma_f64 v[68:69], v[76:77], v[56:57], v[64:65]
	v_mul_f64_e32 v[56:57], v[78:79], v[56:57]
	v_fma_f64 v[70:71], v[76:77], v[58:59], -v[56:57]
	ds_load_b128 v[56:59], v184 offset:10752
	ds_load_b128 v[64:67], v184 offset:12544
	s_wait_dscnt 0x1
	v_mul_f64_e32 v[144:145], v[78:79], v[58:59]
	s_delay_alu instid0(VALU_DEP_1) | instskip(SKIP_1) | instid1(VALU_DEP_1)
	v_fma_f64 v[144:145], v[76:77], v[56:57], v[144:145]
	v_mul_f64_e32 v[56:57], v[78:79], v[56:57]
	v_fma_f64 v[76:77], v[76:77], v[58:59], -v[56:57]
	s_wait_dscnt 0x0
	v_mul_f64_e32 v[56:57], v[179:180], v[66:67]
	v_mul_f64_e32 v[58:59], v[179:180], v[64:65]
	s_delay_alu instid0(VALU_DEP_2) | instskip(NEXT) | instid1(VALU_DEP_2)
	v_fma_f64 v[78:79], v[72:73], v[64:65], v[56:57]
	v_fma_f64 v[146:147], v[72:73], v[66:67], -v[58:59]
	v_mul_f64_e32 v[56:57], v[74:75], v[62:63]
	v_mul_f64_e32 v[58:59], v[74:75], v[60:61]
	s_delay_alu instid0(VALU_DEP_2) | instskip(NEXT) | instid1(VALU_DEP_2)
	v_fma_f64 v[148:149], v[177:178], v[60:61], v[56:57]
	v_fma_f64 v[150:151], v[177:178], v[62:63], -v[58:59]
	ds_load_b128 v[56:59], v184
	ds_load_b128 v[60:63], v184 offset:1792
	s_wait_dscnt 0x1
	v_add_f64_e64 v[64:65], v[56:57], -v[68:69]
	v_add_f64_e64 v[66:67], v[58:59], -v[70:71]
	ds_load_b128 v[68:71], v184 offset:3584
	ds_load_b128 v[72:75], v184 offset:5376
	global_wb scope:SCOPE_SE
	s_wait_dscnt 0x0
	s_barrier_signal -1
	s_barrier_wait -1
	global_inv scope:SCOPE_SE
	v_fma_f64 v[56:57], v[56:57], 2.0, -v[64:65]
	v_fma_f64 v[58:59], v[58:59], 2.0, -v[66:67]
	ds_store_b128 v212, v[64:67] offset:512
	ds_store_b128 v212, v[56:59]
	v_add_f64_e64 v[56:57], v[60:61], -v[148:149]
	v_add_f64_e64 v[58:59], v[62:63], -v[150:151]
	s_delay_alu instid0(VALU_DEP_2) | instskip(NEXT) | instid1(VALU_DEP_2)
	v_fma_f64 v[60:61], v[60:61], 2.0, -v[56:57]
	v_fma_f64 v[62:63], v[62:63], 2.0, -v[58:59]
	ds_store_b128 v211, v[60:63]
	ds_store_b128 v211, v[56:59] offset:512
	v_add_f64_e64 v[56:57], v[68:69], -v[144:145]
	v_add_f64_e64 v[58:59], v[70:71], -v[76:77]
	v_add_f64_e64 v[60:61], v[72:73], -v[78:79]
	v_add_f64_e64 v[62:63], v[74:75], -v[146:147]
	s_delay_alu instid0(VALU_DEP_4) | instskip(NEXT) | instid1(VALU_DEP_4)
	v_fma_f64 v[64:65], v[68:69], 2.0, -v[56:57]
	v_fma_f64 v[66:67], v[70:71], 2.0, -v[58:59]
	s_delay_alu instid0(VALU_DEP_4) | instskip(NEXT) | instid1(VALU_DEP_4)
	v_fma_f64 v[68:69], v[72:73], 2.0, -v[60:61]
	v_fma_f64 v[70:71], v[74:75], 2.0, -v[62:63]
	ds_store_b128 v210, v[64:67]
	ds_store_b128 v210, v[56:59] offset:512
	ds_store_b128 v209, v[68:71]
	ds_store_b128 v209, v[60:63] offset:512
	global_wb scope:SCOPE_SE
	s_wait_dscnt 0x0
	s_barrier_signal -1
	s_barrier_wait -1
	global_inv scope:SCOPE_SE
	ds_load_b128 v[56:59], v184 offset:7168
	ds_load_b128 v[60:63], v184 offset:8960
	s_wait_dscnt 0x1
	v_mul_f64_e32 v[64:65], v[94:95], v[58:59]
	v_mul_f64_e32 v[68:69], v[94:95], v[56:57]
	s_wait_dscnt 0x0
	v_mul_f64_e32 v[70:71], v[90:91], v[62:63]
	v_mul_f64_e32 v[72:73], v[90:91], v[60:61]
	s_delay_alu instid0(VALU_DEP_4)
	v_fma_f64 v[76:77], v[92:93], v[56:57], v[64:65]
	ds_load_b128 v[64:67], v184 offset:10752
	v_fma_f64 v[78:79], v[92:93], v[58:59], -v[68:69]
	ds_load_b128 v[56:59], v184 offset:12544
	v_fma_f64 v[90:91], v[88:89], v[60:61], v[70:71]
	v_fma_f64 v[88:89], v[88:89], v[62:63], -v[72:73]
	s_wait_dscnt 0x1
	v_mul_f64_e32 v[68:69], v[86:87], v[66:67]
	v_mul_f64_e32 v[74:75], v[86:87], v[64:65]
	s_wait_dscnt 0x0
	v_mul_f64_e32 v[86:87], v[82:83], v[58:59]
	v_mul_f64_e32 v[60:61], v[82:83], v[56:57]
	s_delay_alu instid0(VALU_DEP_4) | instskip(NEXT) | instid1(VALU_DEP_4)
	v_fma_f64 v[92:93], v[84:85], v[64:65], v[68:69]
	v_fma_f64 v[94:95], v[84:85], v[66:67], -v[74:75]
	s_delay_alu instid0(VALU_DEP_4) | instskip(NEXT) | instid1(VALU_DEP_4)
	v_fma_f64 v[56:57], v[80:81], v[56:57], v[86:87]
	v_fma_f64 v[58:59], v[80:81], v[58:59], -v[60:61]
	ds_load_b128 v[60:63], v184
	ds_load_b128 v[64:67], v184 offset:1792
	ds_load_b128 v[68:71], v184 offset:3584
	;; [unrolled: 1-line block ×3, first 2 shown]
	global_wb scope:SCOPE_SE
	s_wait_dscnt 0x0
	s_barrier_signal -1
	s_barrier_wait -1
	global_inv scope:SCOPE_SE
	v_add_f64_e64 v[76:77], v[60:61], -v[76:77]
	v_add_f64_e64 v[78:79], v[62:63], -v[78:79]
	;; [unrolled: 1-line block ×8, first 2 shown]
	v_fma_f64 v[60:61], v[60:61], 2.0, -v[76:77]
	v_fma_f64 v[62:63], v[62:63], 2.0, -v[78:79]
	;; [unrolled: 1-line block ×8, first 2 shown]
	ds_store_b128 v200, v[76:79] offset:1024
	ds_store_b128 v200, v[60:63]
	ds_store_b128 v197, v[64:67]
	ds_store_b128 v197, v[80:83] offset:1024
	ds_store_b128 v193, v[68:71]
	ds_store_b128 v193, v[84:87] offset:1024
	;; [unrolled: 2-line block ×3, first 2 shown]
	global_wb scope:SCOPE_SE
	s_wait_dscnt 0x0
	s_barrier_signal -1
	s_barrier_wait -1
	global_inv scope:SCOPE_SE
	ds_load_b128 v[60:63], v184
	ds_load_b128 v[80:83], v184 offset:2048
	ds_load_b128 v[76:79], v184 offset:4096
	ds_load_b128 v[68:71], v184 offset:6144
	ds_load_b128 v[64:67], v184 offset:8192
	ds_load_b128 v[72:75], v184 offset:10240
	ds_load_b128 v[84:87], v184 offset:12288
	s_and_saveexec_b32 s2, vcc_lo
	s_cbranch_execz .LBB0_7
; %bb.6:
	ds_load_b128 v[56:59], v184 offset:1792
	ds_load_b128 v[120:123], v184 offset:3840
	;; [unrolled: 1-line block ×7, first 2 shown]
.LBB0_7:
	s_wait_alu 0xfffe
	s_or_b32 exec_lo, exec_lo, s2
	s_wait_dscnt 0x5
	v_mul_f64_e32 v[88:89], v[110:111], v[82:83]
	v_mul_f64_e32 v[90:91], v[110:111], v[80:81]
	s_wait_dscnt 0x4
	v_mul_f64_e32 v[92:93], v[102:103], v[78:79]
	v_mul_f64_e32 v[94:95], v[102:103], v[76:77]
	;; [unrolled: 3-line block ×3, first 2 shown]
	v_mul_f64_e32 v[110:111], v[98:99], v[74:75]
	v_mul_f64_e32 v[98:99], v[98:99], v[72:73]
	;; [unrolled: 1-line block ×6, first 2 shown]
	s_mov_b32 s8, 0x37e14327
	s_mov_b32 s12, 0xe976ee23
	;; [unrolled: 1-line block ×16, first 2 shown]
	s_wait_alu 0xfffe
	s_mov_b32 s18, s14
	s_mov_b32 s22, s20
	;; [unrolled: 1-line block ×4, first 2 shown]
	v_fma_f64 v[80:81], v[108:109], v[80:81], v[88:89]
	v_fma_f64 v[82:83], v[108:109], v[82:83], -v[90:91]
	v_fma_f64 v[76:77], v[100:101], v[76:77], v[92:93]
	v_fma_f64 v[78:79], v[100:101], v[78:79], -v[94:95]
	;; [unrolled: 2-line block ×6, first 2 shown]
	v_add_f64_e32 v[88:89], v[80:81], v[84:85]
	v_add_f64_e32 v[90:91], v[82:83], v[86:87]
	;; [unrolled: 1-line block ×4, first 2 shown]
	v_add_f64_e64 v[72:73], v[76:77], -v[72:73]
	v_add_f64_e64 v[74:75], v[78:79], -v[74:75]
	v_add_f64_e32 v[76:77], v[68:69], v[64:65]
	v_add_f64_e32 v[78:79], v[70:71], v[66:67]
	v_add_f64_e64 v[64:65], v[64:65], -v[68:69]
	v_add_f64_e64 v[66:67], v[66:67], -v[70:71]
	;; [unrolled: 1-line block ×4, first 2 shown]
	v_add_f64_e32 v[80:81], v[92:93], v[88:89]
	v_add_f64_e32 v[82:83], v[94:95], v[90:91]
	v_add_f64_e64 v[84:85], v[88:89], -v[76:77]
	v_add_f64_e64 v[86:87], v[90:91], -v[78:79]
	;; [unrolled: 1-line block ×6, first 2 shown]
	v_add_f64_e32 v[72:73], v[64:65], v[72:73]
	v_add_f64_e32 v[74:75], v[66:67], v[74:75]
	v_add_f64_e64 v[64:65], v[68:69], -v[64:65]
	v_add_f64_e64 v[66:67], v[70:71], -v[66:67]
	;; [unrolled: 1-line block ×4, first 2 shown]
	v_add_f64_e32 v[80:81], v[76:77], v[80:81]
	v_add_f64_e32 v[82:83], v[78:79], v[82:83]
	v_add_f64_e64 v[76:77], v[76:77], -v[92:93]
	v_add_f64_e64 v[78:79], v[78:79], -v[94:95]
	v_mul_f64_e32 v[84:85], s[8:9], v[84:85]
	v_mul_f64_e32 v[86:87], s[8:9], v[86:87]
	;; [unrolled: 1-line block ×6, first 2 shown]
	v_add_f64_e32 v[68:69], v[72:73], v[68:69]
	v_add_f64_e32 v[70:71], v[74:75], v[70:71]
	;; [unrolled: 1-line block ×4, first 2 shown]
	v_mul_f64_e32 v[92:93], s[16:17], v[76:77]
	v_mul_f64_e32 v[94:95], s[16:17], v[78:79]
	v_fma_f64 v[72:73], v[76:77], s[16:17], v[84:85]
	v_fma_f64 v[74:75], v[78:79], s[16:17], v[86:87]
	;; [unrolled: 1-line block ×4, first 2 shown]
	v_fma_f64 v[96:97], v[100:101], s[2:3], -v[96:97]
	v_fma_f64 v[98:99], v[102:103], s[2:3], -v[98:99]
	v_fma_f64 v[64:65], v[64:65], s[22:23], -v[104:105]
	v_fma_f64 v[66:67], v[66:67], s[22:23], -v[106:107]
	s_wait_alu 0xfffe
	v_fma_f64 v[84:85], v[88:89], s[18:19], -v[84:85]
	v_fma_f64 v[86:87], v[90:91], s[18:19], -v[86:87]
	v_fma_f64 v[80:81], v[80:81], s[10:11], v[60:61]
	v_fma_f64 v[82:83], v[82:83], s[10:11], v[62:63]
	v_fma_f64 v[88:89], v[88:89], s[14:15], -v[92:93]
	v_fma_f64 v[90:91], v[90:91], s[14:15], -v[94:95]
	v_fma_f64 v[92:93], v[68:69], s[24:25], v[76:77]
	v_fma_f64 v[94:95], v[70:71], s[24:25], v[78:79]
	v_fma_f64 v[78:79], v[68:69], s[24:25], v[96:97]
	v_fma_f64 v[76:77], v[70:71], s[24:25], v[98:99]
	v_fma_f64 v[96:97], v[68:69], s[24:25], v[64:65]
	v_fma_f64 v[98:99], v[70:71], s[24:25], v[66:67]
	v_add_f64_e32 v[100:101], v[72:73], v[80:81]
	v_add_f64_e32 v[102:103], v[74:75], v[82:83]
	;; [unrolled: 1-line block ×7, first 2 shown]
	v_add_f64_e64 v[66:67], v[102:103], -v[92:93]
	v_add_f64_e32 v[68:69], v[98:99], v[84:85]
	v_add_f64_e64 v[70:71], v[86:87], -v[96:97]
	v_add_f64_e64 v[72:73], v[80:81], -v[76:77]
	v_add_f64_e32 v[74:75], v[78:79], v[82:83]
	v_add_f64_e32 v[76:77], v[76:77], v[80:81]
	v_add_f64_e64 v[78:79], v[82:83], -v[78:79]
	v_add_f64_e64 v[80:81], v[84:85], -v[98:99]
	v_add_f64_e32 v[82:83], v[96:97], v[86:87]
	v_add_f64_e64 v[84:85], v[100:101], -v[94:95]
	v_add_f64_e32 v[86:87], v[92:93], v[102:103]
	ds_store_b128 v184, v[60:63]
	ds_store_b128 v184, v[64:67] offset:2048
	ds_store_b128 v184, v[68:71] offset:4096
	;; [unrolled: 1-line block ×6, first 2 shown]
	s_and_saveexec_b32 s26, vcc_lo
	s_cbranch_execz .LBB0_9
; %bb.8:
	v_mul_f64_e32 v[60:61], v[42:43], v[140:141]
	v_mul_f64_e32 v[62:63], v[38:39], v[120:121]
	v_mul_f64_e32 v[64:65], v[54:55], v[136:137]
	v_mul_f64_e32 v[66:67], v[34:35], v[124:125]
	v_mul_f64_e32 v[38:39], v[38:39], v[122:123]
	v_mul_f64_e32 v[42:43], v[42:43], v[142:143]
	v_mul_f64_e32 v[34:35], v[34:35], v[126:127]
	v_mul_f64_e32 v[54:55], v[54:55], v[138:139]
	v_mul_f64_e32 v[68:69], v[46:47], v[134:135]
	v_mul_f64_e32 v[70:71], v[50:51], v[130:131]
	v_mul_f64_e32 v[50:51], v[50:51], v[128:129]
	v_mul_f64_e32 v[46:47], v[46:47], v[132:133]
	v_fma_f64 v[60:61], v[40:41], v[142:143], -v[60:61]
	v_fma_f64 v[62:63], v[36:37], v[122:123], -v[62:63]
	;; [unrolled: 1-line block ×4, first 2 shown]
	v_fma_f64 v[36:37], v[36:37], v[120:121], v[38:39]
	v_fma_f64 v[38:39], v[40:41], v[140:141], v[42:43]
	v_fma_f64 v[32:33], v[32:33], v[124:125], v[34:35]
	v_fma_f64 v[34:35], v[52:53], v[136:137], v[54:55]
	v_fma_f64 v[40:41], v[44:45], v[132:133], v[68:69]
	v_fma_f64 v[42:43], v[48:49], v[128:129], v[70:71]
	v_fma_f64 v[48:49], v[48:49], v[130:131], -v[50:51]
	v_fma_f64 v[44:45], v[44:45], v[134:135], -v[46:47]
	v_add_f64_e32 v[46:47], v[62:63], v[60:61]
	v_add_f64_e32 v[50:51], v[66:67], v[64:65]
	;; [unrolled: 1-line block ×3, first 2 shown]
	v_add_f64_e64 v[36:37], v[36:37], -v[38:39]
	v_add_f64_e32 v[54:55], v[32:33], v[34:35]
	v_add_f64_e64 v[32:33], v[32:33], -v[34:35]
	v_add_f64_e64 v[68:69], v[40:41], -v[42:43]
	v_add_f64_e32 v[40:41], v[42:43], v[40:41]
	v_add_f64_e32 v[34:35], v[48:49], v[44:45]
	v_add_f64_e64 v[42:43], v[44:45], -v[48:49]
	v_add_f64_e64 v[44:45], v[66:67], -v[64:65]
	;; [unrolled: 1-line block ×3, first 2 shown]
	v_add_f64_e32 v[38:39], v[50:51], v[46:47]
	v_add_f64_e32 v[60:61], v[54:55], v[52:53]
	v_add_f64_e64 v[70:71], v[32:33], -v[36:37]
	v_add_f64_e64 v[62:63], v[68:69], -v[32:33]
	;; [unrolled: 1-line block ×8, first 2 shown]
	v_add_f64_e32 v[68:69], v[68:69], v[32:33]
	v_add_f64_e32 v[44:45], v[42:43], v[44:45]
	v_add_f64_e64 v[42:43], v[48:49], -v[42:43]
	v_add_f64_e64 v[46:47], v[50:51], -v[46:47]
	;; [unrolled: 1-line block ×3, first 2 shown]
	v_add_f64_e32 v[38:39], v[34:35], v[38:39]
	v_add_f64_e32 v[60:61], v[40:41], v[60:61]
	v_add_f64_e64 v[40:41], v[40:41], -v[54:55]
	v_mul_f64_e32 v[62:63], s[12:13], v[62:63]
	v_mul_f64_e32 v[66:67], s[8:9], v[66:67]
	;; [unrolled: 1-line block ×5, first 2 shown]
	v_add_f64_e32 v[36:37], v[68:69], v[36:37]
	v_add_f64_e32 v[44:45], v[44:45], v[48:49]
	v_add_f64_e32 v[34:35], v[58:59], v[38:39]
	v_mul_f64_e32 v[58:59], s[12:13], v[74:75]
	v_mul_f64_e32 v[74:75], s[2:3], v[76:77]
	v_add_f64_e32 v[32:33], v[56:57], v[60:61]
	v_mul_f64_e32 v[54:55], s[16:17], v[40:41]
	v_fma_f64 v[48:49], v[78:79], s[20:21], v[62:63]
	v_fma_f64 v[40:41], v[40:41], s[16:17], v[66:67]
	;; [unrolled: 1-line block ×3, first 2 shown]
	v_fma_f64 v[68:69], v[78:79], s[22:23], -v[80:81]
	v_fma_f64 v[64:65], v[46:47], s[18:19], -v[64:65]
	;; [unrolled: 1-line block ×5, first 2 shown]
	v_fma_f64 v[38:39], v[38:39], s[10:11], v[34:35]
	v_fma_f64 v[50:51], v[42:43], s[20:21], v[58:59]
	v_fma_f64 v[42:43], v[42:43], s[22:23], -v[74:75]
	v_fma_f64 v[58:59], v[76:77], s[2:3], -v[58:59]
	v_fma_f64 v[60:61], v[60:61], s[10:11], v[32:33]
	v_fma_f64 v[52:53], v[52:53], s[14:15], -v[54:55]
	v_fma_f64 v[48:49], v[36:37], s[24:25], v[48:49]
	v_fma_f64 v[54:55], v[36:37], s[24:25], v[68:69]
	;; [unrolled: 1-line block ×3, first 2 shown]
	v_add_f64_e32 v[56:57], v[56:57], v[38:39]
	v_fma_f64 v[68:69], v[44:45], s[24:25], v[50:51]
	v_add_f64_e32 v[62:63], v[64:65], v[38:39]
	v_fma_f64 v[70:71], v[44:45], s[24:25], v[42:43]
	v_add_f64_e32 v[72:73], v[40:41], v[60:61]
	v_add_f64_e32 v[40:41], v[66:67], v[60:61]
	;; [unrolled: 1-line block ×3, first 2 shown]
	v_fma_f64 v[44:45], v[44:45], s[24:25], v[58:59]
	v_add_f64_e32 v[60:61], v[52:53], v[60:61]
	v_add_f64_e32 v[38:39], v[48:49], v[56:57]
	v_add_f64_e64 v[58:59], v[56:57], -v[48:49]
	v_add_f64_e32 v[42:43], v[54:55], v[62:63]
	v_add_f64_e64 v[54:55], v[62:63], -v[54:55]
	v_add_f64_e32 v[56:57], v[68:69], v[72:73]
	v_add_f64_e32 v[52:53], v[70:71], v[40:41]
	;; [unrolled: 1-line block ×3, first 2 shown]
	v_add_f64_e64 v[46:47], v[64:65], -v[36:37]
	v_add_f64_e64 v[48:49], v[60:61], -v[44:45]
	v_add_f64_e32 v[44:45], v[44:45], v[60:61]
	v_add_f64_e64 v[40:41], v[40:41], -v[70:71]
	v_add_f64_e64 v[36:37], v[72:73], -v[68:69]
	ds_store_b128 v184, v[32:35] offset:1792
	ds_store_b128 v184, v[56:59] offset:3840
	;; [unrolled: 1-line block ×7, first 2 shown]
.LBB0_9:
	s_or_b32 exec_lo, exec_lo, s26
	global_wb scope:SCOPE_SE
	s_wait_dscnt 0x0
	s_barrier_signal -1
	s_barrier_wait -1
	global_inv scope:SCOPE_SE
	ds_load_b128 v[32:35], v184
	ds_load_b128 v[36:39], v184 offset:7168
	ds_load_b128 v[40:43], v184 offset:1792
	;; [unrolled: 1-line block ×7, first 2 shown]
	v_mad_co_u64_u32 v[80:81], null, s6, v176, 0
	v_mad_co_u64_u32 v[82:83], null, s4, v183, 0
	s_mov_b32 s2, 0x92492492
	s_mov_b32 s3, 0x3f524924
	s_delay_alu instid0(VALU_DEP_1)
	v_mad_co_u64_u32 v[84:85], null, s7, v176, v[81:82]
	s_wait_dscnt 0x7
	v_mul_f64_e32 v[64:65], v[2:3], v[34:35]
	v_mul_f64_e32 v[2:3], v[2:3], v[32:33]
	s_wait_dscnt 0x6
	v_mul_f64_e32 v[66:67], v[10:11], v[38:39]
	v_mul_f64_e32 v[10:11], v[10:11], v[36:37]
	;; [unrolled: 3-line block ×8, first 2 shown]
	v_mov_b32_e32 v81, v83
	s_movk_i32 s6, 0xeb00
	s_mov_b32 s7, -1
	s_delay_alu instid0(VALU_DEP_1) | instskip(SKIP_1) | instid1(VALU_DEP_2)
	v_mad_co_u64_u32 v[85:86], null, s5, v183, v[81:82]
	v_mov_b32_e32 v81, v84
	v_mov_b32_e32 v83, v85
	v_fma_f64 v[32:33], v[0:1], v[32:33], v[64:65]
	v_fma_f64 v[2:3], v[0:1], v[34:35], -v[2:3]
	v_fma_f64 v[34:35], v[8:9], v[36:37], v[66:67]
	v_fma_f64 v[8:9], v[8:9], v[38:39], -v[10:11]
	;; [unrolled: 2-line block ×8, first 2 shown]
	v_lshlrev_b64_e32 v[0:1], 4, v[80:81]
	v_lshlrev_b64_e32 v[4:5], 4, v[82:83]
	s_delay_alu instid0(VALU_DEP_2) | instskip(SKIP_1) | instid1(VALU_DEP_3)
	v_add_co_u32 v0, vcc_lo, s0, v0
	s_wait_alu 0xfffd
	v_add_co_ci_u32_e32 v1, vcc_lo, s1, v1, vcc_lo
	s_mul_u64 s[0:1], s[4:5], 0x1c00
	s_delay_alu instid0(VALU_DEP_2) | instskip(SKIP_1) | instid1(VALU_DEP_2)
	v_add_co_u32 v48, vcc_lo, v0, v4
	s_wait_alu 0xfffd
	v_add_co_ci_u32_e32 v49, vcc_lo, v1, v5, vcc_lo
	s_wait_alu 0xfffe
	s_delay_alu instid0(VALU_DEP_2) | instskip(SKIP_1) | instid1(VALU_DEP_2)
	v_add_co_u32 v50, vcc_lo, v48, s0
	s_wait_alu 0xfffd
	v_add_co_ci_u32_e32 v51, vcc_lo, s1, v49, vcc_lo
	v_mul_f64_e32 v[0:1], s[2:3], v[32:33]
	v_mul_f64_e32 v[2:3], s[2:3], v[2:3]
	;; [unrolled: 1-line block ×16, first 2 shown]
	s_mul_u64 s[2:3], s[4:5], s[6:7]
	s_wait_alu 0xfffe
	v_add_co_u32 v32, vcc_lo, v50, s2
	s_wait_alu 0xfffd
	v_add_co_ci_u32_e32 v33, vcc_lo, s3, v51, vcc_lo
	s_delay_alu instid0(VALU_DEP_2) | instskip(SKIP_1) | instid1(VALU_DEP_2)
	v_add_co_u32 v34, vcc_lo, v32, s0
	s_wait_alu 0xfffd
	v_add_co_ci_u32_e32 v35, vcc_lo, s1, v33, vcc_lo
	s_delay_alu instid0(VALU_DEP_2) | instskip(SKIP_1) | instid1(VALU_DEP_2)
	;; [unrolled: 4-line block ×5, first 2 shown]
	v_add_co_u32 v42, vcc_lo, v40, s0
	s_wait_alu 0xfffd
	v_add_co_ci_u32_e32 v43, vcc_lo, s1, v41, vcc_lo
	s_clause 0x4
	global_store_b128 v[48:49], v[0:3], off
	global_store_b128 v[50:51], v[4:7], off
	;; [unrolled: 1-line block ×8, first 2 shown]
.LBB0_10:
	s_nop 0
	s_sendmsg sendmsg(MSG_DEALLOC_VGPRS)
	s_endpgm
	.section	.rodata,"a",@progbits
	.p2align	6, 0x0
	.amdhsa_kernel bluestein_single_back_len896_dim1_dp_op_CI_CI
		.amdhsa_group_segment_fixed_size 14336
		.amdhsa_private_segment_fixed_size 8
		.amdhsa_kernarg_size 104
		.amdhsa_user_sgpr_count 2
		.amdhsa_user_sgpr_dispatch_ptr 0
		.amdhsa_user_sgpr_queue_ptr 0
		.amdhsa_user_sgpr_kernarg_segment_ptr 1
		.amdhsa_user_sgpr_dispatch_id 0
		.amdhsa_user_sgpr_private_segment_size 0
		.amdhsa_wavefront_size32 1
		.amdhsa_uses_dynamic_stack 0
		.amdhsa_enable_private_segment 1
		.amdhsa_system_sgpr_workgroup_id_x 1
		.amdhsa_system_sgpr_workgroup_id_y 0
		.amdhsa_system_sgpr_workgroup_id_z 0
		.amdhsa_system_sgpr_workgroup_info 0
		.amdhsa_system_vgpr_workitem_id 0
		.amdhsa_next_free_vgpr 256
		.amdhsa_next_free_sgpr 27
		.amdhsa_reserve_vcc 1
		.amdhsa_float_round_mode_32 0
		.amdhsa_float_round_mode_16_64 0
		.amdhsa_float_denorm_mode_32 3
		.amdhsa_float_denorm_mode_16_64 3
		.amdhsa_fp16_overflow 0
		.amdhsa_workgroup_processor_mode 1
		.amdhsa_memory_ordered 1
		.amdhsa_forward_progress 0
		.amdhsa_round_robin_scheduling 0
		.amdhsa_exception_fp_ieee_invalid_op 0
		.amdhsa_exception_fp_denorm_src 0
		.amdhsa_exception_fp_ieee_div_zero 0
		.amdhsa_exception_fp_ieee_overflow 0
		.amdhsa_exception_fp_ieee_underflow 0
		.amdhsa_exception_fp_ieee_inexact 0
		.amdhsa_exception_int_div_zero 0
	.end_amdhsa_kernel
	.text
.Lfunc_end0:
	.size	bluestein_single_back_len896_dim1_dp_op_CI_CI, .Lfunc_end0-bluestein_single_back_len896_dim1_dp_op_CI_CI
                                        ; -- End function
	.section	.AMDGPU.csdata,"",@progbits
; Kernel info:
; codeLenInByte = 12788
; NumSgprs: 29
; NumVgprs: 256
; ScratchSize: 8
; MemoryBound: 0
; FloatMode: 240
; IeeeMode: 1
; LDSByteSize: 14336 bytes/workgroup (compile time only)
; SGPRBlocks: 3
; VGPRBlocks: 31
; NumSGPRsForWavesPerEU: 29
; NumVGPRsForWavesPerEU: 256
; Occupancy: 5
; WaveLimiterHint : 1
; COMPUTE_PGM_RSRC2:SCRATCH_EN: 1
; COMPUTE_PGM_RSRC2:USER_SGPR: 2
; COMPUTE_PGM_RSRC2:TRAP_HANDLER: 0
; COMPUTE_PGM_RSRC2:TGID_X_EN: 1
; COMPUTE_PGM_RSRC2:TGID_Y_EN: 0
; COMPUTE_PGM_RSRC2:TGID_Z_EN: 0
; COMPUTE_PGM_RSRC2:TIDIG_COMP_CNT: 0
	.text
	.p2alignl 7, 3214868480
	.fill 96, 4, 3214868480
	.type	__hip_cuid_de9e007be2e67391,@object ; @__hip_cuid_de9e007be2e67391
	.section	.bss,"aw",@nobits
	.globl	__hip_cuid_de9e007be2e67391
__hip_cuid_de9e007be2e67391:
	.byte	0                               ; 0x0
	.size	__hip_cuid_de9e007be2e67391, 1

	.ident	"AMD clang version 19.0.0git (https://github.com/RadeonOpenCompute/llvm-project roc-6.4.0 25133 c7fe45cf4b819c5991fe208aaa96edf142730f1d)"
	.section	".note.GNU-stack","",@progbits
	.addrsig
	.addrsig_sym __hip_cuid_de9e007be2e67391
	.amdgpu_metadata
---
amdhsa.kernels:
  - .args:
      - .actual_access:  read_only
        .address_space:  global
        .offset:         0
        .size:           8
        .value_kind:     global_buffer
      - .actual_access:  read_only
        .address_space:  global
        .offset:         8
        .size:           8
        .value_kind:     global_buffer
      - .actual_access:  read_only
        .address_space:  global
        .offset:         16
        .size:           8
        .value_kind:     global_buffer
      - .actual_access:  read_only
        .address_space:  global
        .offset:         24
        .size:           8
        .value_kind:     global_buffer
      - .actual_access:  read_only
        .address_space:  global
        .offset:         32
        .size:           8
        .value_kind:     global_buffer
      - .offset:         40
        .size:           8
        .value_kind:     by_value
      - .address_space:  global
        .offset:         48
        .size:           8
        .value_kind:     global_buffer
      - .address_space:  global
        .offset:         56
        .size:           8
        .value_kind:     global_buffer
      - .address_space:  global
        .offset:         64
        .size:           8
        .value_kind:     global_buffer
      - .address_space:  global
        .offset:         72
        .size:           8
        .value_kind:     global_buffer
      - .offset:         80
        .size:           4
        .value_kind:     by_value
      - .address_space:  global
        .offset:         88
        .size:           8
        .value_kind:     global_buffer
      - .address_space:  global
        .offset:         96
        .size:           8
        .value_kind:     global_buffer
    .group_segment_fixed_size: 14336
    .kernarg_segment_align: 8
    .kernarg_segment_size: 104
    .language:       OpenCL C
    .language_version:
      - 2
      - 0
    .max_flat_workgroup_size: 112
    .name:           bluestein_single_back_len896_dim1_dp_op_CI_CI
    .private_segment_fixed_size: 8
    .sgpr_count:     29
    .sgpr_spill_count: 0
    .symbol:         bluestein_single_back_len896_dim1_dp_op_CI_CI.kd
    .uniform_work_group_size: 1
    .uses_dynamic_stack: false
    .vgpr_count:     256
    .vgpr_spill_count: 1
    .wavefront_size: 32
    .workgroup_processor_mode: 1
amdhsa.target:   amdgcn-amd-amdhsa--gfx1201
amdhsa.version:
  - 1
  - 2
...

	.end_amdgpu_metadata
